;; amdgpu-corpus repo=ROCm/rocFFT kind=compiled arch=gfx906 opt=O3
	.text
	.amdgcn_target "amdgcn-amd-amdhsa--gfx906"
	.amdhsa_code_object_version 6
	.protected	fft_rtc_back_len816_factors_17_2_3_2_2_2_wgs_51_tpt_51_halfLds_half_op_CI_CI_unitstride_sbrr_C2R_dirReg ; -- Begin function fft_rtc_back_len816_factors_17_2_3_2_2_2_wgs_51_tpt_51_halfLds_half_op_CI_CI_unitstride_sbrr_C2R_dirReg
	.globl	fft_rtc_back_len816_factors_17_2_3_2_2_2_wgs_51_tpt_51_halfLds_half_op_CI_CI_unitstride_sbrr_C2R_dirReg
	.p2align	8
	.type	fft_rtc_back_len816_factors_17_2_3_2_2_2_wgs_51_tpt_51_halfLds_half_op_CI_CI_unitstride_sbrr_C2R_dirReg,@function
fft_rtc_back_len816_factors_17_2_3_2_2_2_wgs_51_tpt_51_halfLds_half_op_CI_CI_unitstride_sbrr_C2R_dirReg: ; @fft_rtc_back_len816_factors_17_2_3_2_2_2_wgs_51_tpt_51_halfLds_half_op_CI_CI_unitstride_sbrr_C2R_dirReg
; %bb.0:
	s_load_dwordx4 s[8:11], s[4:5], 0x58
	s_load_dwordx4 s[12:15], s[4:5], 0x0
	;; [unrolled: 1-line block ×3, first 2 shown]
	v_mul_u32_u24_e32 v1, 0x506, v0
	v_mov_b32_e32 v3, 0
	v_mov_b32_e32 v7, 0
	s_waitcnt lgkmcnt(0)
	v_cmp_lt_u64_e64 s[0:1], s[14:15], 2
	v_add_u32_sdwa v9, s6, v1 dst_sel:DWORD dst_unused:UNUSED_PAD src0_sel:DWORD src1_sel:WORD_1
	v_mov_b32_e32 v10, v3
	s_and_b64 vcc, exec, s[0:1]
	v_mov_b32_e32 v8, 0
	s_cbranch_vccnz .LBB0_8
; %bb.1:
	s_load_dwordx2 s[0:1], s[4:5], 0x10
	s_add_u32 s2, s18, 8
	s_addc_u32 s3, s19, 0
	s_add_u32 s6, s16, 8
	s_addc_u32 s7, s17, 0
	v_mov_b32_e32 v7, 0
	s_waitcnt lgkmcnt(0)
	s_add_u32 s20, s0, 8
	v_mov_b32_e32 v8, 0
	v_mov_b32_e32 v1, v7
	s_addc_u32 s21, s1, 0
	s_mov_b64 s[22:23], 1
	v_mov_b32_e32 v2, v8
.LBB0_2:                                ; =>This Inner Loop Header: Depth=1
	s_load_dwordx2 s[24:25], s[20:21], 0x0
                                        ; implicit-def: $vgpr5_vgpr6
	s_waitcnt lgkmcnt(0)
	v_or_b32_e32 v4, s25, v10
	v_cmp_ne_u64_e32 vcc, 0, v[3:4]
	s_and_saveexec_b64 s[0:1], vcc
	s_xor_b64 s[26:27], exec, s[0:1]
	s_cbranch_execz .LBB0_4
; %bb.3:                                ;   in Loop: Header=BB0_2 Depth=1
	v_cvt_f32_u32_e32 v4, s24
	v_cvt_f32_u32_e32 v5, s25
	s_sub_u32 s0, 0, s24
	s_subb_u32 s1, 0, s25
	v_mac_f32_e32 v4, 0x4f800000, v5
	v_rcp_f32_e32 v4, v4
	v_mul_f32_e32 v4, 0x5f7ffffc, v4
	v_mul_f32_e32 v5, 0x2f800000, v4
	v_trunc_f32_e32 v5, v5
	v_mac_f32_e32 v4, 0xcf800000, v5
	v_cvt_u32_f32_e32 v5, v5
	v_cvt_u32_f32_e32 v4, v4
	v_mul_lo_u32 v6, s0, v5
	v_mul_hi_u32 v11, s0, v4
	v_mul_lo_u32 v13, s1, v4
	v_mul_lo_u32 v12, s0, v4
	v_add_u32_e32 v6, v11, v6
	v_add_u32_e32 v6, v6, v13
	v_mul_hi_u32 v11, v4, v12
	v_mul_lo_u32 v13, v4, v6
	v_mul_hi_u32 v15, v4, v6
	v_mul_hi_u32 v14, v5, v12
	v_mul_lo_u32 v12, v5, v12
	v_mul_hi_u32 v16, v5, v6
	v_add_co_u32_e32 v11, vcc, v11, v13
	v_addc_co_u32_e32 v13, vcc, 0, v15, vcc
	v_mul_lo_u32 v6, v5, v6
	v_add_co_u32_e32 v11, vcc, v11, v12
	v_addc_co_u32_e32 v11, vcc, v13, v14, vcc
	v_addc_co_u32_e32 v12, vcc, 0, v16, vcc
	v_add_co_u32_e32 v6, vcc, v11, v6
	v_addc_co_u32_e32 v11, vcc, 0, v12, vcc
	v_add_co_u32_e32 v4, vcc, v4, v6
	v_addc_co_u32_e32 v5, vcc, v5, v11, vcc
	v_mul_lo_u32 v6, s0, v5
	v_mul_hi_u32 v11, s0, v4
	v_mul_lo_u32 v12, s1, v4
	v_mul_lo_u32 v13, s0, v4
	v_add_u32_e32 v6, v11, v6
	v_add_u32_e32 v6, v6, v12
	v_mul_lo_u32 v14, v4, v6
	v_mul_hi_u32 v15, v4, v13
	v_mul_hi_u32 v16, v4, v6
	v_mul_hi_u32 v12, v5, v13
	v_mul_lo_u32 v13, v5, v13
	v_mul_hi_u32 v11, v5, v6
	v_add_co_u32_e32 v14, vcc, v15, v14
	v_addc_co_u32_e32 v15, vcc, 0, v16, vcc
	v_mul_lo_u32 v6, v5, v6
	v_add_co_u32_e32 v13, vcc, v14, v13
	v_addc_co_u32_e32 v12, vcc, v15, v12, vcc
	v_addc_co_u32_e32 v11, vcc, 0, v11, vcc
	v_add_co_u32_e32 v6, vcc, v12, v6
	v_addc_co_u32_e32 v11, vcc, 0, v11, vcc
	v_add_co_u32_e32 v6, vcc, v4, v6
	v_addc_co_u32_e32 v11, vcc, v5, v11, vcc
	v_mad_u64_u32 v[4:5], s[0:1], v9, v11, 0
	v_mul_hi_u32 v12, v9, v6
	v_add_co_u32_e32 v13, vcc, v12, v4
	v_addc_co_u32_e32 v14, vcc, 0, v5, vcc
	v_mad_u64_u32 v[4:5], s[0:1], v10, v6, 0
	v_mad_u64_u32 v[11:12], s[0:1], v10, v11, 0
	v_add_co_u32_e32 v4, vcc, v13, v4
	v_addc_co_u32_e32 v4, vcc, v14, v5, vcc
	v_addc_co_u32_e32 v5, vcc, 0, v12, vcc
	v_add_co_u32_e32 v11, vcc, v4, v11
	v_addc_co_u32_e32 v6, vcc, 0, v5, vcc
	v_mul_lo_u32 v12, s25, v11
	v_mul_lo_u32 v13, s24, v6
	v_mad_u64_u32 v[4:5], s[0:1], s24, v11, 0
	v_add3_u32 v5, v5, v13, v12
	v_sub_u32_e32 v12, v10, v5
	v_mov_b32_e32 v13, s25
	v_sub_co_u32_e32 v4, vcc, v9, v4
	v_subb_co_u32_e64 v12, s[0:1], v12, v13, vcc
	v_subrev_co_u32_e64 v13, s[0:1], s24, v4
	v_subbrev_co_u32_e64 v12, s[0:1], 0, v12, s[0:1]
	v_cmp_le_u32_e64 s[0:1], s25, v12
	v_cndmask_b32_e64 v14, 0, -1, s[0:1]
	v_cmp_le_u32_e64 s[0:1], s24, v13
	v_cndmask_b32_e64 v13, 0, -1, s[0:1]
	v_cmp_eq_u32_e64 s[0:1], s25, v12
	v_cndmask_b32_e64 v12, v14, v13, s[0:1]
	v_add_co_u32_e64 v13, s[0:1], 2, v11
	v_addc_co_u32_e64 v14, s[0:1], 0, v6, s[0:1]
	v_add_co_u32_e64 v15, s[0:1], 1, v11
	v_addc_co_u32_e64 v16, s[0:1], 0, v6, s[0:1]
	v_subb_co_u32_e32 v5, vcc, v10, v5, vcc
	v_cmp_ne_u32_e64 s[0:1], 0, v12
	v_cmp_le_u32_e32 vcc, s25, v5
	v_cndmask_b32_e64 v12, v16, v14, s[0:1]
	v_cndmask_b32_e64 v14, 0, -1, vcc
	v_cmp_le_u32_e32 vcc, s24, v4
	v_cndmask_b32_e64 v4, 0, -1, vcc
	v_cmp_eq_u32_e32 vcc, s25, v5
	v_cndmask_b32_e32 v4, v14, v4, vcc
	v_cmp_ne_u32_e32 vcc, 0, v4
	v_cndmask_b32_e64 v4, v15, v13, s[0:1]
	v_cndmask_b32_e32 v6, v6, v12, vcc
	v_cndmask_b32_e32 v5, v11, v4, vcc
.LBB0_4:                                ;   in Loop: Header=BB0_2 Depth=1
	s_andn2_saveexec_b64 s[0:1], s[26:27]
	s_cbranch_execz .LBB0_6
; %bb.5:                                ;   in Loop: Header=BB0_2 Depth=1
	v_cvt_f32_u32_e32 v4, s24
	s_sub_i32 s26, 0, s24
	v_rcp_iflag_f32_e32 v4, v4
	v_mul_f32_e32 v4, 0x4f7ffffe, v4
	v_cvt_u32_f32_e32 v4, v4
	v_mul_lo_u32 v5, s26, v4
	v_mul_hi_u32 v5, v4, v5
	v_add_u32_e32 v4, v4, v5
	v_mul_hi_u32 v4, v9, v4
	v_mul_lo_u32 v5, v4, s24
	v_add_u32_e32 v6, 1, v4
	v_sub_u32_e32 v5, v9, v5
	v_subrev_u32_e32 v11, s24, v5
	v_cmp_le_u32_e32 vcc, s24, v5
	v_cndmask_b32_e32 v5, v5, v11, vcc
	v_cndmask_b32_e32 v4, v4, v6, vcc
	v_add_u32_e32 v6, 1, v4
	v_cmp_le_u32_e32 vcc, s24, v5
	v_cndmask_b32_e32 v5, v4, v6, vcc
	v_mov_b32_e32 v6, v3
.LBB0_6:                                ;   in Loop: Header=BB0_2 Depth=1
	s_or_b64 exec, exec, s[0:1]
	v_mul_lo_u32 v4, v6, s24
	v_mul_lo_u32 v13, v5, s25
	v_mad_u64_u32 v[11:12], s[0:1], v5, s24, 0
	s_load_dwordx2 s[0:1], s[6:7], 0x0
	s_load_dwordx2 s[24:25], s[2:3], 0x0
	v_add3_u32 v4, v12, v13, v4
	v_sub_co_u32_e32 v9, vcc, v9, v11
	v_subb_co_u32_e32 v4, vcc, v10, v4, vcc
	s_waitcnt lgkmcnt(0)
	v_mul_lo_u32 v10, s0, v4
	v_mul_lo_u32 v11, s1, v9
	v_mad_u64_u32 v[7:8], s[0:1], s0, v9, v[7:8]
	s_add_u32 s22, s22, 1
	s_addc_u32 s23, s23, 0
	s_add_u32 s2, s2, 8
	v_mul_lo_u32 v4, s24, v4
	v_mul_lo_u32 v12, s25, v9
	v_mad_u64_u32 v[1:2], s[0:1], s24, v9, v[1:2]
	v_add3_u32 v8, v11, v8, v10
	s_addc_u32 s3, s3, 0
	v_mov_b32_e32 v9, s14
	s_add_u32 s6, s6, 8
	v_mov_b32_e32 v10, s15
	s_addc_u32 s7, s7, 0
	v_cmp_ge_u64_e32 vcc, s[22:23], v[9:10]
	s_add_u32 s20, s20, 8
	v_add3_u32 v2, v12, v2, v4
	s_addc_u32 s21, s21, 0
	s_cbranch_vccnz .LBB0_9
; %bb.7:                                ;   in Loop: Header=BB0_2 Depth=1
	v_mov_b32_e32 v10, v6
	v_mov_b32_e32 v9, v5
	s_branch .LBB0_2
.LBB0_8:
	v_mov_b32_e32 v1, v7
	v_mov_b32_e32 v5, v9
	;; [unrolled: 1-line block ×4, first 2 shown]
.LBB0_9:
	s_load_dwordx2 s[0:1], s[4:5], 0x28
	s_lshl_b64 s[6:7], s[14:15], 3
	s_add_u32 s4, s18, s6
	s_addc_u32 s5, s19, s7
                                        ; implicit-def: $vgpr3
                                        ; implicit-def: $vgpr9_vgpr10
	s_waitcnt lgkmcnt(0)
	v_cmp_gt_u64_e32 vcc, s[0:1], v[5:6]
	v_cmp_le_u64_e64 s[0:1], s[0:1], v[5:6]
	s_and_saveexec_b64 s[2:3], s[0:1]
	s_xor_b64 s[0:1], exec, s[2:3]
; %bb.10:
	s_mov_b32 s2, 0x5050506
	v_mul_hi_u32 v3, v0, s2
	v_mov_b32_e32 v4, 0
                                        ; implicit-def: $vgpr7_vgpr8
	v_mul_u32_u24_e32 v3, 51, v3
	v_sub_u32_e32 v3, v0, v3
	v_mov_b32_e32 v10, v4
	v_mov_b32_e32 v9, v3
                                        ; implicit-def: $vgpr0
; %bb.11:
	s_or_saveexec_b64 s[2:3], s[0:1]
	s_load_dwordx2 s[4:5], s[4:5], 0x0
	s_xor_b64 exec, exec, s[2:3]
	s_cbranch_execz .LBB0_15
; %bb.12:
	s_add_u32 s0, s16, s6
	s_addc_u32 s1, s17, s7
	s_load_dwordx2 s[0:1], s[0:1], 0x0
	s_mov_b32 s6, 0x5050506
	v_mul_hi_u32 v3, v0, s6
	v_lshlrev_b64 v[7:8], 2, v[7:8]
	s_waitcnt lgkmcnt(0)
	v_mul_lo_u32 v4, s1, v5
	v_mul_lo_u32 v11, s0, v6
	v_mad_u64_u32 v[9:10], s[0:1], s0, v5, 0
	v_mul_u32_u24_e32 v3, 51, v3
	v_sub_u32_e32 v3, v0, v3
	v_add3_u32 v10, v10, v11, v4
	v_lshlrev_b64 v[9:10], 2, v[9:10]
	v_mov_b32_e32 v0, s9
	v_add_co_u32_e64 v4, s[0:1], s8, v9
	v_addc_co_u32_e64 v0, s[0:1], v0, v10, s[0:1]
	v_add_co_u32_e64 v7, s[0:1], v4, v7
	v_addc_co_u32_e64 v8, s[0:1], v0, v8, s[0:1]
	v_lshlrev_b32_e32 v0, 2, v3
	v_add_co_u32_e64 v9, s[0:1], v7, v0
	v_addc_co_u32_e64 v10, s[0:1], 0, v8, s[0:1]
	global_load_dword v11, v[9:10], off
	global_load_dword v12, v[9:10], off offset:204
	global_load_dword v13, v[9:10], off offset:408
	;; [unrolled: 1-line block ×14, first 2 shown]
	s_nop 0
	global_load_dword v9, v[9:10], off offset:3060
	v_add_u32_e32 v0, 0, v0
	v_mov_b32_e32 v4, 0
	v_add_u32_e32 v10, 0x400, v0
	v_add_u32_e32 v26, 0x600, v0
	;; [unrolled: 1-line block ×3, first 2 shown]
	v_cmp_eq_u32_e64 s[0:1], 50, v3
	s_waitcnt vmcnt(14)
	ds_write2_b32 v0, v11, v12 offset1:51
	s_waitcnt vmcnt(12)
	ds_write2_b32 v0, v13, v14 offset0:102 offset1:153
	s_waitcnt vmcnt(10)
	ds_write2_b32 v0, v15, v16 offset0:204 offset1:255
	;; [unrolled: 2-line block ×7, first 2 shown]
	v_mov_b32_e32 v10, v4
	v_mov_b32_e32 v9, v3
	s_and_saveexec_b64 s[6:7], s[0:1]
	s_cbranch_execz .LBB0_14
; %bb.13:
	global_load_dword v0, v[7:8], off offset:3264
	v_mov_b32_e32 v9, 50
	v_mov_b32_e32 v10, 0
	;; [unrolled: 1-line block ×3, first 2 shown]
	s_waitcnt vmcnt(0)
	ds_write_b32 v4, v0 offset:3264
.LBB0_14:
	s_or_b64 exec, exec, s[6:7]
.LBB0_15:
	s_or_b64 exec, exec, s[2:3]
	v_lshlrev_b32_e32 v4, 2, v3
	v_add_u32_e32 v0, 0, v4
	s_waitcnt lgkmcnt(0)
	; wave barrier
	s_waitcnt lgkmcnt(0)
	v_sub_u32_e32 v11, 0, v4
	ds_read_u16 v4, v0
	ds_read_u16 v14, v11 offset:3264
	v_lshlrev_b64 v[7:8], 2, v[9:10]
	v_cmp_ne_u32_e64 s[0:1], 0, v3
	s_waitcnt lgkmcnt(0)
	v_add_f16_e32 v12, v14, v4
	v_sub_f16_e32 v13, v4, v14
	s_and_saveexec_b64 s[2:3], s[0:1]
	s_xor_b64 s[2:3], exec, s[2:3]
	s_cbranch_execz .LBB0_17
; %bb.16:
	v_mov_b32_e32 v10, s13
	v_add_co_u32_e64 v9, s[0:1], s12, v7
	v_addc_co_u32_e64 v10, s[0:1], v10, v8, s[0:1]
	global_load_dword v9, v[9:10], off offset:3196
	ds_read_u16 v10, v11 offset:3266
	ds_read_u16 v12, v0 offset:2
	v_add_f16_e32 v13, v14, v4
	v_sub_f16_e32 v4, v4, v14
	s_waitcnt lgkmcnt(0)
	v_add_f16_e32 v14, v10, v12
	v_sub_f16_e32 v10, v12, v10
	s_waitcnt vmcnt(0)
	v_lshrrev_b32_e32 v12, 16, v9
	v_fma_f16 v15, v4, v12, v13
	v_fma_f16 v16, v14, v12, v10
	v_fma_f16 v17, -v4, v12, v13
	v_fma_f16 v10, v14, v12, -v10
	v_fma_f16 v12, -v9, v14, v15
	v_fma_f16 v13, v4, v9, v16
	v_fma_f16 v14, v9, v14, v17
	;; [unrolled: 1-line block ×3, first 2 shown]
	v_pack_b32_f16 v4, v14, v4
	ds_write_b32 v11, v4 offset:3264
.LBB0_17:
	s_andn2_saveexec_b64 s[0:1], s[2:3]
	s_cbranch_execz .LBB0_19
; %bb.18:
	v_mov_b32_e32 v4, 0
	ds_read_b32 v9, v4 offset:1632
	s_mov_b32 s2, 0xc0004000
	s_waitcnt lgkmcnt(0)
	v_pk_mul_f16 v9, v9, s2
	ds_write_b32 v4, v9 offset:1632
.LBB0_19:
	s_or_b64 exec, exec, s[0:1]
	v_mov_b32_e32 v4, 0
	s_add_u32 s0, s12, 0xc7c
	v_lshlrev_b64 v[9:10], 2, v[3:4]
	s_addc_u32 s1, s13, 0
	v_mov_b32_e32 v4, s1
	v_add_co_u32_e64 v14, s[0:1], s0, v9
	v_addc_co_u32_e64 v15, s[0:1], v4, v10, s[0:1]
	global_load_dword v4, v[14:15], off offset:204
	global_load_dword v16, v[14:15], off offset:408
	;; [unrolled: 1-line block ×4, first 2 shown]
	s_mov_b32 s6, 0x5040100
	v_perm_b32 v12, v13, v12, s6
	ds_write_b32 v0, v12
	ds_read_b32 v12, v0 offset:204
	ds_read_b32 v13, v11 offset:3060
	global_load_dword v19, v[14:15], off offset:1020
	global_load_dword v20, v[14:15], off offset:1224
	;; [unrolled: 1-line block ×3, first 2 shown]
	v_add_u32_e32 v28, 0x800, v0
	v_add_u32_e32 v29, 0x400, v0
	s_mov_b32 s24, 0xb5c8
	s_waitcnt lgkmcnt(0)
	v_add_f16_e32 v14, v12, v13
	v_add_f16_sdwa v15, v13, v12 dst_sel:DWORD dst_unused:UNUSED_PAD src0_sel:WORD_1 src1_sel:WORD_1
	v_sub_f16_e32 v22, v12, v13
	v_sub_f16_sdwa v12, v12, v13 dst_sel:DWORD dst_unused:UNUSED_PAD src0_sel:WORD_1 src1_sel:WORD_1
	v_add_u32_e32 v30, 0x600, v0
	s_movk_i32 s7, 0x3b76
	s_mov_b32 s27, 0xb964
	s_movk_i32 s8, 0x39e9
	s_mov_b32 s25, 0xbb29
	s_movk_i32 s9, 0x3722
	s_mov_b32 s26, 0xbbf7
	s_movk_i32 s15, 0x2de8
	s_mov_b32 s14, 0xbbb2
	s_mov_b32 s16, 0xb461
	s_mov_b32 s17, 0xba62
	;; [unrolled: 1-line block ×7, first 2 shown]
	v_cmp_gt_u32_e64 s[0:1], 48, v3
	s_waitcnt vmcnt(6)
	v_lshrrev_b32_e32 v13, 16, v4
	v_fma_f16 v23, v22, v13, v14
	v_fma_f16 v24, v15, v13, v12
	v_fma_f16 v14, -v22, v13, v14
	v_fma_f16 v12, v15, v13, -v12
	v_fma_f16 v13, -v4, v15, v23
	v_fma_f16 v23, v22, v4, v24
	v_fma_f16 v14, v4, v15, v14
	v_fma_f16 v4, v22, v4, v12
	v_pack_b32_f16 v12, v13, v23
	v_pack_b32_f16 v4, v14, v4
	ds_write_b32 v0, v12 offset:204
	ds_write_b32 v11, v4 offset:3060
	ds_read_b32 v4, v0 offset:408
	ds_read_b32 v12, v11 offset:2856
	s_waitcnt vmcnt(5)
	v_lshrrev_b32_e32 v13, 16, v16
	s_waitcnt lgkmcnt(0)
	v_add_f16_e32 v14, v4, v12
	v_add_f16_sdwa v15, v12, v4 dst_sel:DWORD dst_unused:UNUSED_PAD src0_sel:WORD_1 src1_sel:WORD_1
	v_sub_f16_e32 v22, v4, v12
	v_sub_f16_sdwa v4, v4, v12 dst_sel:DWORD dst_unused:UNUSED_PAD src0_sel:WORD_1 src1_sel:WORD_1
	v_fma_f16 v12, v22, v13, v14
	v_fma_f16 v23, v15, v13, v4
	v_fma_f16 v14, -v22, v13, v14
	v_fma_f16 v4, v15, v13, -v4
	v_fma_f16 v12, -v16, v15, v12
	v_fma_f16 v13, v22, v16, v23
	v_fma_f16 v14, v16, v15, v14
	v_fma_f16 v4, v22, v16, v4
	v_pack_b32_f16 v12, v12, v13
	v_pack_b32_f16 v4, v14, v4
	ds_write_b32 v0, v12 offset:408
	ds_write_b32 v11, v4 offset:2856
	ds_read_b32 v4, v0 offset:612
	ds_read_b32 v12, v11 offset:2652
	s_waitcnt vmcnt(4)
	v_lshrrev_b32_e32 v13, 16, v17
	s_waitcnt lgkmcnt(0)
	v_add_f16_e32 v14, v4, v12
	v_add_f16_sdwa v15, v12, v4 dst_sel:DWORD dst_unused:UNUSED_PAD src0_sel:WORD_1 src1_sel:WORD_1
	v_sub_f16_e32 v16, v4, v12
	v_sub_f16_sdwa v4, v4, v12 dst_sel:DWORD dst_unused:UNUSED_PAD src0_sel:WORD_1 src1_sel:WORD_1
	;; [unrolled: 21-line block ×6, first 2 shown]
	v_fma_f16 v12, v16, v13, v14
	v_fma_f16 v17, v15, v13, v4
	v_fma_f16 v14, -v16, v13, v14
	v_fma_f16 v4, v15, v13, -v4
	v_fma_f16 v12, -v21, v15, v12
	v_fma_f16 v13, v16, v21, v17
	v_fma_f16 v14, v21, v15, v14
	;; [unrolled: 1-line block ×3, first 2 shown]
	v_pack_b32_f16 v12, v12, v13
	v_pack_b32_f16 v4, v14, v4
	ds_write_b32 v0, v12 offset:1428
	ds_write_b32 v11, v4 offset:1836
	s_waitcnt lgkmcnt(0)
	; wave barrier
	s_waitcnt lgkmcnt(0)
	s_waitcnt lgkmcnt(0)
	; wave barrier
	s_waitcnt lgkmcnt(0)
	ds_read2_b32 v[11:12], v0 offset1:48
	ds_read_b32 v39, v0 offset:3072
	ds_read2_b32 v[13:14], v28 offset0:160 offset1:208
	ds_read2_b32 v[15:16], v0 offset0:96 offset1:144
	;; [unrolled: 1-line block ×7, first 2 shown]
	s_waitcnt lgkmcnt(7)
	v_pk_add_f16 v31, v12, v39 neg_lo:[0,1] neg_hi:[0,1]
	v_pk_add_f16 v34, v39, v12
	v_pk_mul_f16 v4, v31, s24 op_sel_hi:[1,0]
	s_waitcnt lgkmcnt(5)
	v_pk_add_f16 v32, v15, v14 neg_lo:[0,1] neg_hi:[0,1]
	v_pk_fma_f16 v45, v34, s7, v4 op_sel:[0,0,1] op_sel_hi:[1,0,0] neg_lo:[0,0,1] neg_hi:[0,0,1]
	v_pk_fma_f16 v46, v34, s7, v4 op_sel:[0,0,1] op_sel_hi:[1,0,0]
	v_pk_add_f16 v35, v14, v15
	v_pk_mul_f16 v4, v32, s27 op_sel_hi:[1,0]
	v_pk_add_f16 v33, v16, v13 neg_lo:[0,1] neg_hi:[0,1]
	v_pk_fma_f16 v47, v35, s8, v4 op_sel:[0,0,1] op_sel_hi:[1,0,0] neg_lo:[0,0,1] neg_hi:[0,0,1]
	v_pk_fma_f16 v49, v35, s8, v4 op_sel:[0,0,1] op_sel_hi:[1,0,0]
	v_pk_add_f16 v37, v13, v16
	v_pk_mul_f16 v4, v33, s25 op_sel_hi:[1,0]
	s_waitcnt lgkmcnt(3)
	v_pk_add_f16 v36, v19, v18 neg_lo:[0,1] neg_hi:[0,1]
	v_pk_fma_f16 v51, v37, s9, v4 op_sel:[0,0,1] op_sel_hi:[1,0,0] neg_lo:[0,0,1] neg_hi:[0,0,1]
	v_pk_fma_f16 v52, v37, s9, v4 op_sel:[0,0,1] op_sel_hi:[1,0,0]
	v_pk_add_f16 v40, v18, v19
	v_pk_mul_f16 v4, v36, s26 op_sel_hi:[1,0]
	v_pk_add_f16 v38, v20, v17 neg_lo:[0,1] neg_hi:[0,1]
	v_pk_fma_f16 v54, v40, s15, v4 op_sel:[0,0,1] op_sel_hi:[1,0,0] neg_lo:[0,0,1] neg_hi:[0,0,1]
	v_pk_fma_f16 v55, v40, s15, v4 op_sel:[0,0,1] op_sel_hi:[1,0,0]
	v_pk_add_f16 v42, v17, v20
	v_pk_mul_f16 v4, v38, s14 op_sel_hi:[1,0]
	s_waitcnt lgkmcnt(1)
	v_pk_add_f16 v41, v23, v22 neg_lo:[0,1] neg_hi:[0,1]
	v_pk_fma_f16 v57, v42, s16, v4 op_sel:[0,0,1] op_sel_hi:[1,0,0] neg_lo:[0,0,1] neg_hi:[0,0,1]
	v_pk_fma_f16 v58, v42, s16, v4 op_sel:[0,0,1] op_sel_hi:[1,0,0]
	v_pk_add_f16 v44, v22, v23
	v_pk_mul_f16 v4, v41, s17 op_sel_hi:[1,0]
	v_pk_add_f16 v43, v24, v21 neg_lo:[0,1] neg_hi:[0,1]
	s_waitcnt lgkmcnt(0)
	v_pk_add_f16 v50, v25, v26 neg_lo:[0,1] neg_hi:[0,1]
	v_pk_fma_f16 v59, v44, s19, v4 op_sel:[0,0,1] op_sel_hi:[1,0,0] neg_lo:[0,0,1] neg_hi:[0,0,1]
	v_pk_fma_f16 v60, v44, s19, v4 op_sel:[0,0,1] op_sel_hi:[1,0,0]
	v_pk_add_f16 v48, v21, v24
	v_pk_mul_f16 v4, v43, s18 op_sel_hi:[1,0]
	v_pk_add_f16 v53, v26, v25
	v_pk_mul_f16 v27, v50, s20 op_sel_hi:[1,0]
	v_pk_fma_f16 v61, v48, s21, v4 op_sel:[0,0,1] op_sel_hi:[1,0,0] neg_lo:[0,0,1] neg_hi:[0,0,1]
	v_pk_fma_f16 v63, v48, s21, v4 op_sel:[0,0,1] op_sel_hi:[1,0,0]
	v_add_f16_e32 v4, v11, v45
	v_pk_fma_f16 v64, v53, s22, v27 op_sel:[0,0,1] op_sel_hi:[1,0,0] neg_lo:[0,0,1] neg_hi:[0,0,1]
	v_pk_fma_f16 v65, v53, s22, v27 op_sel:[0,0,1] op_sel_hi:[1,0,0]
	v_add_f16_sdwa v27, v11, v46 dst_sel:DWORD dst_unused:UNUSED_PAD src0_sel:WORD_1 src1_sel:WORD_1
	v_add_f16_e32 v4, v47, v4
	v_add_f16_sdwa v27, v49, v27 dst_sel:DWORD dst_unused:UNUSED_PAD src0_sel:WORD_1 src1_sel:DWORD
	v_add_f16_e32 v4, v51, v4
	v_add_f16_sdwa v27, v52, v27 dst_sel:DWORD dst_unused:UNUSED_PAD src0_sel:WORD_1 src1_sel:DWORD
	;; [unrolled: 2-line block ×7, first 2 shown]
	s_waitcnt lgkmcnt(0)
	; wave barrier
	s_and_saveexec_b64 s[2:3], s[0:1]
	s_cbranch_execz .LBB0_21
; %bb.20:
	v_mul_f16_e32 v67, 0xb964, v31
	v_lshrrev_b32_e32 v68, 16, v34
	v_fma_f16 v56, v68, s8, v67
	v_mul_f16_e32 v69, 0xbbf7, v32
	v_lshrrev_b32_e32 v70, 16, v35
	v_add_f16_sdwa v56, v11, v56 dst_sel:DWORD dst_unused:UNUSED_PAD src0_sel:WORD_1 src1_sel:DWORD
	v_fma_f16 v62, v70, s15, v69
	v_mul_f16_e32 v71, 0xba62, v33
	v_lshrrev_b32_e32 v72, 16, v37
	v_add_f16_e32 v56, v62, v56
	v_fma_f16 v62, v72, s19, v71
	v_mul_f16_e32 v73, 0xb1e1, v36
	v_lshrrev_b32_e32 v74, 16, v40
	v_add_f16_e32 v56, v62, v56
	;; [unrolled: 4-line block ×6, first 2 shown]
	v_fma_f16 v62, v82, s7, v81
	v_mul_f16_sdwa v83, v31, s27 dst_sel:DWORD dst_unused:UNUSED_PAD src0_sel:WORD_1 src1_sel:DWORD
	v_add_f16_e32 v56, v62, v56
	v_fma_f16 v62, v34, s8, -v83
	v_mul_f16_sdwa v84, v32, s26 dst_sel:DWORD dst_unused:UNUSED_PAD src0_sel:WORD_1 src1_sel:DWORD
	v_add_f16_e32 v62, v11, v62
	v_fma_f16 v66, v35, s15, -v84
	v_mul_f16_sdwa v85, v33, s17 dst_sel:DWORD dst_unused:UNUSED_PAD src0_sel:WORD_1 src1_sel:DWORD
	s_movk_i32 s29, 0x3836
	v_add_f16_e32 v62, v66, v62
	v_fma_f16 v66, v37, s19, -v85
	v_mul_f16_sdwa v86, v36, s20 dst_sel:DWORD dst_unused:UNUSED_PAD src0_sel:WORD_1 src1_sel:DWORD
	s_movk_i32 s28, 0x3bb2
	;; [unrolled: 4-line block ×4, first 2 shown]
	v_add_f16_e32 v62, v66, v62
	v_fma_f16 v66, v44, s16, -v88
	v_mul_f16_sdwa v89, v43, s0 dst_sel:DWORD dst_unused:UNUSED_PAD src0_sel:WORD_1 src1_sel:DWORD
	v_add_f16_e32 v62, v66, v62
	v_fma_f16 v66, v48, s9, -v89
	v_mul_f16_sdwa v90, v50, s1 dst_sel:DWORD dst_unused:UNUSED_PAD src0_sel:WORD_1 src1_sel:DWORD
	v_add_f16_e32 v62, v66, v62
	v_fma_f16 v66, v53, s7, -v90
	v_mul_f16_e32 v91, 0xbb29, v31
	v_add_f16_e32 v62, v66, v62
	v_fma_f16 v66, v68, s9, v91
	v_mul_f16_e32 v92, 0xba62, v32
	v_add_f16_sdwa v66, v11, v66 dst_sel:DWORD dst_unused:UNUSED_PAD src0_sel:WORD_1 src1_sel:DWORD
	v_fma_f16 v93, v70, s19, v92
	v_add_f16_e32 v66, v93, v66
	v_mul_f16_e32 v93, 0x31e1, v33
	v_fma_f16 v94, v72, s22, v93
	v_add_f16_e32 v66, v94, v66
	v_mul_f16_e32 v94, 0x3bb2, v36
	;; [unrolled: 3-line block ×6, first 2 shown]
	v_fma_f16 v99, v82, s21, v98
	v_add_f16_e32 v66, v99, v66
	v_mul_f16_sdwa v99, v31, s25 dst_sel:DWORD dst_unused:UNUSED_PAD src0_sel:WORD_1 src1_sel:DWORD
	v_fma_f16 v100, v34, s9, -v99
	v_mul_f16_sdwa v101, v32, s17 dst_sel:DWORD dst_unused:UNUSED_PAD src0_sel:WORD_1 src1_sel:DWORD
	v_add_f16_e32 v100, v11, v100
	v_fma_f16 v102, v35, s19, -v101
	s_movk_i32 s23, 0x31e1
	v_add_f16_e32 v100, v102, v100
	v_mul_f16_sdwa v102, v33, s23 dst_sel:DWORD dst_unused:UNUSED_PAD src0_sel:WORD_1 src1_sel:DWORD
	v_fma_f16 v103, v37, s22, -v102
	v_add_f16_e32 v100, v103, v100
	v_mul_f16_sdwa v103, v36, s28 dst_sel:DWORD dst_unused:UNUSED_PAD src0_sel:WORD_1 src1_sel:DWORD
	v_fma_f16 v104, v40, s16, -v103
	s_movk_i32 s23, 0x3964
	v_add_f16_e32 v100, v104, v100
	v_mul_f16_sdwa v104, v38, s23 dst_sel:DWORD dst_unused:UNUSED_PAD src0_sel:WORD_1 src1_sel:DWORD
	v_fma_f16 v105, v42, s8, -v104
	v_add_f16_e32 v100, v105, v100
	v_mul_f16_sdwa v105, v41, s24 dst_sel:DWORD dst_unused:UNUSED_PAD src0_sel:WORD_1 src1_sel:DWORD
	v_fma_f16 v106, v44, s7, -v105
	v_add_f16_e32 v100, v106, v100
	v_mul_f16_sdwa v106, v43, s26 dst_sel:DWORD dst_unused:UNUSED_PAD src0_sel:WORD_1 src1_sel:DWORD
	v_fma_f16 v107, v48, s15, -v106
	v_add_f16_e32 v100, v107, v100
	v_mul_f16_sdwa v107, v50, s18 dst_sel:DWORD dst_unused:UNUSED_PAD src0_sel:WORD_1 src1_sel:DWORD
	v_fma_f16 v108, v53, s21, -v107
	v_add_f16_e32 v100, v108, v100
	v_mul_f16_e32 v108, 0xbbf7, v31
	v_fma_f16 v109, v68, s15, v108
	v_mul_f16_e32 v110, 0xb1e1, v32
	v_add_f16_sdwa v109, v11, v109 dst_sel:DWORD dst_unused:UNUSED_PAD src0_sel:WORD_1 src1_sel:DWORD
	v_fma_f16 v111, v70, s22, v110
	v_add_f16_e32 v109, v111, v109
	v_mul_f16_e32 v111, 0x3bb2, v33
	v_fma_f16 v112, v72, s16, v111
	v_add_f16_e32 v109, v112, v109
	v_mul_f16_e32 v112, 0x35c8, v36
	;; [unrolled: 3-line block ×6, first 2 shown]
	v_fma_f16 v117, v82, s8, v116
	v_add_f16_e32 v109, v117, v109
	v_mul_f16_sdwa v117, v31, s26 dst_sel:DWORD dst_unused:UNUSED_PAD src0_sel:WORD_1 src1_sel:DWORD
	v_fma_f16 v118, v34, s15, -v117
	v_mul_f16_sdwa v119, v32, s20 dst_sel:DWORD dst_unused:UNUSED_PAD src0_sel:WORD_1 src1_sel:DWORD
	v_add_f16_e32 v118, v11, v118
	v_fma_f16 v120, v35, s22, -v119
	v_add_f16_e32 v118, v120, v118
	v_mul_f16_sdwa v120, v33, s28 dst_sel:DWORD dst_unused:UNUSED_PAD src0_sel:WORD_1 src1_sel:DWORD
	v_fma_f16 v121, v37, s16, -v120
	v_add_f16_e32 v118, v121, v118
	v_mul_f16_sdwa v121, v36, s1 dst_sel:DWORD dst_unused:UNUSED_PAD src0_sel:WORD_1 src1_sel:DWORD
	;; [unrolled: 3-line block ×4, first 2 shown]
	v_fma_f16 v124, v44, s21, -v123
	s_movk_i32 s30, 0x3a62
	v_add_f16_e32 v118, v124, v118
	v_mul_f16_sdwa v124, v43, s30 dst_sel:DWORD dst_unused:UNUSED_PAD src0_sel:WORD_1 src1_sel:DWORD
	v_fma_f16 v125, v48, s19, -v124
	v_add_f16_e32 v118, v125, v118
	v_mul_f16_sdwa v125, v50, s23 dst_sel:DWORD dst_unused:UNUSED_PAD src0_sel:WORD_1 src1_sel:DWORD
	v_fma_f16 v126, v53, s8, -v125
	v_add_f16_e32 v118, v126, v118
	v_mul_f16_e32 v126, 0xbbb2, v31
	v_fma_f16 v127, v68, s16, v126
	v_mul_f16_e32 v128, 0x3836, v32
	v_add_f16_sdwa v127, v11, v127 dst_sel:DWORD dst_unused:UNUSED_PAD src0_sel:WORD_1 src1_sel:DWORD
	v_fma_f16 v129, v70, s21, v128
	v_add_f16_e32 v127, v129, v127
	v_mul_f16_e32 v129, 0x3964, v33
	v_fma_f16 v130, v72, s8, v129
	v_add_f16_e32 v127, v130, v127
	v_mul_f16_e32 v130, 0xbb29, v36
	;; [unrolled: 3-line block ×6, first 2 shown]
	v_fma_f16 v135, v82, s19, v134
	v_add_f16_e32 v127, v135, v127
	v_mul_f16_sdwa v135, v31, s14 dst_sel:DWORD dst_unused:UNUSED_PAD src0_sel:WORD_1 src1_sel:DWORD
	v_fma_f16 v136, v34, s16, -v135
	v_mul_f16_sdwa v137, v32, s29 dst_sel:DWORD dst_unused:UNUSED_PAD src0_sel:WORD_1 src1_sel:DWORD
	v_add_f16_e32 v136, v11, v136
	v_fma_f16 v138, v35, s21, -v137
	v_add_f16_e32 v136, v138, v136
	v_mul_f16_sdwa v138, v33, s23 dst_sel:DWORD dst_unused:UNUSED_PAD src0_sel:WORD_1 src1_sel:DWORD
	v_fma_f16 v139, v37, s8, -v138
	v_add_f16_e32 v136, v139, v136
	v_mul_f16_sdwa v139, v36, s25 dst_sel:DWORD dst_unused:UNUSED_PAD src0_sel:WORD_1 src1_sel:DWORD
	;; [unrolled: 3-line block ×3, first 2 shown]
	v_fma_f16 v141, v42, s22, -v140
	s_movk_i32 s25, 0x3bf7
	v_add_f16_e32 v136, v141, v136
	v_mul_f16_sdwa v141, v41, s25 dst_sel:DWORD dst_unused:UNUSED_PAD src0_sel:WORD_1 src1_sel:DWORD
	v_fma_f16 v142, v44, s15, -v141
	v_add_f16_e32 v136, v142, v136
	v_mul_f16_sdwa v142, v43, s24 dst_sel:DWORD dst_unused:UNUSED_PAD src0_sel:WORD_1 src1_sel:DWORD
	v_fma_f16 v143, v48, s7, -v142
	v_add_f16_e32 v136, v143, v136
	v_mul_f16_sdwa v143, v50, s17 dst_sel:DWORD dst_unused:UNUSED_PAD src0_sel:WORD_1 src1_sel:DWORD
	v_fma_f16 v144, v53, s19, -v143
	v_add_f16_e32 v136, v144, v136
	v_mul_f16_e32 v144, 0xba62, v31
	v_fma_f16 v145, v68, s19, v144
	v_mul_f16_e32 v146, 0x3bb2, v32
	v_add_f16_sdwa v145, v11, v145 dst_sel:DWORD dst_unused:UNUSED_PAD src0_sel:WORD_1 src1_sel:DWORD
	v_fma_f16 v147, v70, s16, v146
	v_add_f16_e32 v145, v147, v145
	v_mul_f16_e32 v147, 0xb5c8, v33
	v_fma_f16 v148, v72, s7, v147
	v_add_f16_e32 v145, v148, v145
	v_mul_f16_e32 v148, 0xb836, v36
	;; [unrolled: 3-line block ×6, first 2 shown]
	v_fma_f16 v153, v82, s9, v152
	v_add_f16_e32 v145, v153, v145
	v_mul_f16_sdwa v153, v31, s17 dst_sel:DWORD dst_unused:UNUSED_PAD src0_sel:WORD_1 src1_sel:DWORD
	v_fma_f16 v154, v34, s19, -v153
	v_mul_f16_sdwa v155, v32, s28 dst_sel:DWORD dst_unused:UNUSED_PAD src0_sel:WORD_1 src1_sel:DWORD
	v_add_f16_e32 v154, v11, v154
	v_fma_f16 v156, v35, s16, -v155
	v_add_f16_e32 v154, v156, v154
	v_mul_f16_sdwa v156, v33, s24 dst_sel:DWORD dst_unused:UNUSED_PAD src0_sel:WORD_1 src1_sel:DWORD
	v_fma_f16 v157, v37, s7, -v156
	v_add_f16_e32 v154, v157, v154
	v_mul_f16_sdwa v157, v36, s18 dst_sel:DWORD dst_unused:UNUSED_PAD src0_sel:WORD_1 src1_sel:DWORD
	;; [unrolled: 3-line block ×6, first 2 shown]
	v_fma_f16 v162, v53, s9, -v161
	v_add_f16_e32 v154, v162, v154
	v_mul_f16_e32 v162, 0xb836, v31
	v_fma_f16 v163, v68, s21, v162
	v_mul_f16_e32 v164, 0x3b29, v32
	v_add_f16_sdwa v163, v11, v163 dst_sel:DWORD dst_unused:UNUSED_PAD src0_sel:WORD_1 src1_sel:DWORD
	v_fma_f16 v165, v70, s9, v164
	v_add_f16_e32 v163, v165, v163
	v_mul_f16_e32 v165, 0xbbf7, v33
	v_fma_f16 v166, v72, s15, v165
	v_add_f16_e32 v163, v166, v163
	v_mul_f16_e32 v166, 0x3a62, v36
	;; [unrolled: 3-line block ×5, first 2 shown]
	v_pk_add_f16 v12, v11, v12
	v_fma_f16 v170, v80, s8, v169
	v_pk_add_f16 v12, v12, v15
	v_add_f16_e32 v163, v170, v163
	v_mul_f16_e32 v170, 0xbbb2, v50
	v_pk_add_f16 v12, v12, v16
	v_fma_f16 v171, v82, s16, v170
	v_pk_add_f16 v12, v12, v19
	v_add_f16_e32 v163, v171, v163
	v_mul_f16_sdwa v171, v31, s18 dst_sel:DWORD dst_unused:UNUSED_PAD src0_sel:WORD_1 src1_sel:DWORD
	v_fma_f16 v91, v68, s9, -v91
	v_fma_f16 v67, v68, s8, -v67
	v_pk_add_f16 v12, v12, v20
	v_fma_f16 v172, v34, s21, -v171
	v_mul_f16_sdwa v173, v32, s0 dst_sel:DWORD dst_unused:UNUSED_PAD src0_sel:WORD_1 src1_sel:DWORD
	v_fma_f16 v162, v68, s21, -v162
	v_fma_f16 v144, v68, s19, -v144
	;; [unrolled: 1-line block ×4, first 2 shown]
	v_add_f16_sdwa v91, v11, v91 dst_sel:DWORD dst_unused:UNUSED_PAD src0_sel:WORD_1 src1_sel:DWORD
	v_fma_f16 v92, v70, s19, -v92
	v_fma_f16 v68, v70, s15, -v69
	v_add_f16_sdwa v67, v11, v67 dst_sel:DWORD dst_unused:UNUSED_PAD src0_sel:WORD_1 src1_sel:DWORD
	v_pk_add_f16 v12, v12, v23
	v_add_f16_e32 v172, v11, v172
	v_fma_f16 v174, v35, s9, -v173
	v_add_f16_sdwa v126, v11, v126 dst_sel:DWORD dst_unused:UNUSED_PAD src0_sel:WORD_1 src1_sel:DWORD
	v_fma_f16 v128, v70, s21, -v128
	v_add_f16_sdwa v108, v11, v108 dst_sel:DWORD dst_unused:UNUSED_PAD src0_sel:WORD_1 src1_sel:DWORD
	v_fma_f16 v110, v70, s22, -v110
	v_add_f16_e32 v91, v92, v91
	v_fma_f16 v92, v72, s22, -v93
	v_add_f16_e32 v67, v68, v67
	v_fma_f16 v68, v72, s19, -v71
	v_pk_add_f16 v12, v12, v24
	v_add_f16_e32 v172, v174, v172
	v_mul_f16_sdwa v174, v33, s26 dst_sel:DWORD dst_unused:UNUSED_PAD src0_sel:WORD_1 src1_sel:DWORD
	v_add_f16_sdwa v162, v11, v162 dst_sel:DWORD dst_unused:UNUSED_PAD src0_sel:WORD_1 src1_sel:DWORD
	v_fma_f16 v164, v70, s9, -v164
	v_add_f16_sdwa v144, v11, v144 dst_sel:DWORD dst_unused:UNUSED_PAD src0_sel:WORD_1 src1_sel:DWORD
	v_fma_f16 v146, v70, s16, -v146
	v_add_f16_e32 v126, v128, v126
	v_fma_f16 v128, v72, s8, -v129
	v_add_f16_e32 v108, v110, v108
	;; [unrolled: 2-line block ×4, first 2 shown]
	v_fma_f16 v68, v74, s22, -v73
	v_pk_add_f16 v12, v12, v25
	v_fma_f16 v175, v37, s15, -v174
	v_add_f16_e32 v162, v164, v162
	v_fma_f16 v164, v72, s15, -v165
	v_add_f16_e32 v144, v146, v144
	;; [unrolled: 2-line block ×6, first 2 shown]
	v_fma_f16 v68, v76, s21, -v75
	v_pk_add_f16 v12, v12, v26
	v_add_f16_e32 v172, v175, v172
	v_mul_f16_sdwa v175, v36, s30 dst_sel:DWORD dst_unused:UNUSED_PAD src0_sel:WORD_1 src1_sel:DWORD
	v_add_f16_e32 v162, v164, v162
	v_fma_f16 v164, v74, s19, -v166
	v_add_f16_e32 v144, v146, v144
	v_fma_f16 v146, v74, s21, -v148
	;; [unrolled: 2-line block ×6, first 2 shown]
	v_pk_add_f16 v12, v12, v21
	v_fma_f16 v176, v40, s19, -v175
	v_add_f16_e32 v162, v164, v162
	v_fma_f16 v164, v76, s7, -v167
	v_add_f16_e32 v144, v146, v144
	;; [unrolled: 2-line block ×6, first 2 shown]
	v_fma_f16 v68, v80, s9, -v79
	v_pk_add_f16 v12, v12, v22
	v_add_f16_e32 v172, v176, v172
	v_mul_f16_sdwa v176, v38, s24 dst_sel:DWORD dst_unused:UNUSED_PAD src0_sel:WORD_1 src1_sel:DWORD
	v_add_f16_e32 v162, v164, v162
	v_fma_f16 v164, v78, s22, -v168
	v_add_f16_e32 v144, v146, v144
	v_fma_f16 v146, v78, s8, -v150
	;; [unrolled: 2-line block ×6, first 2 shown]
	s_mov_b32 s24, 0xffff
	v_pk_add_f16 v12, v12, v17
	v_add_f16_e32 v162, v164, v162
	v_fma_f16 v164, v80, s8, -v169
	v_add_f16_e32 v144, v146, v144
	v_fma_f16 v146, v80, s22, -v151
	v_add_f16_e32 v126, v128, v126
	v_fma_f16 v128, v82, s19, -v134
	v_add_f16_e32 v108, v110, v108
	v_fma_f16 v110, v82, s8, -v116
	v_add_f16_e32 v91, v92, v91
	v_fma_f16 v92, v34, s9, v99
	v_add_f16_e32 v67, v68, v67
	v_fma_f16 v68, v34, s8, v83
	v_bfi_b32 v45, s24, v46, v45
	v_pk_add_f16 v12, v12, v18
	v_add_f16_e32 v162, v164, v162
	v_fma_f16 v164, v82, s16, -v170
	v_add_f16_e32 v144, v146, v144
	v_fma_f16 v146, v82, s9, -v152
	v_add_f16_e32 v126, v128, v126
	v_fma_f16 v128, v34, s16, v135
	v_add_f16_e32 v108, v110, v108
	v_fma_f16 v110, v34, s15, v117
	;; [unrolled: 2-line block ×4, first 2 shown]
	v_bfi_b32 v46, s24, v49, v47
	v_pk_add_f16 v12, v12, v13
	v_pk_add_f16 v13, v11, v45
	v_add_f16_e32 v162, v164, v162
	v_fma_f16 v164, v34, s21, v171
	v_add_f16_e32 v144, v146, v144
	v_fma_f16 v146, v34, s19, v153
	;; [unrolled: 2-line block ×6, first 2 shown]
	v_bfi_b32 v47, s24, v52, v51
	v_pk_add_f16 v13, v46, v13
	v_fma_f16 v177, v42, s7, -v176
	v_add_f16_e32 v164, v11, v164
	v_fma_f16 v165, v35, s9, v173
	v_add_f16_e32 v146, v11, v146
	v_fma_f16 v147, v35, s16, v155
	;; [unrolled: 2-line block ×6, first 2 shown]
	v_bfi_b32 v49, s24, v55, v54
	v_pk_add_f16 v13, v47, v13
	v_add_f16_e32 v172, v177, v172
	v_mul_f16_sdwa v177, v41, s20 dst_sel:DWORD dst_unused:UNUSED_PAD src0_sel:WORD_1 src1_sel:DWORD
	v_add_f16_e32 v164, v165, v164
	v_fma_f16 v165, v37, s15, v174
	v_add_f16_e32 v146, v147, v146
	v_fma_f16 v147, v37, s7, v156
	;; [unrolled: 2-line block ×6, first 2 shown]
	v_bfi_b32 v51, s24, v58, v57
	v_pk_add_f16 v13, v49, v13
	v_fma_f16 v178, v44, s22, -v177
	v_add_f16_e32 v164, v165, v164
	v_fma_f16 v165, v40, s19, v175
	v_add_f16_e32 v146, v147, v146
	v_fma_f16 v147, v40, s21, v157
	;; [unrolled: 2-line block ×6, first 2 shown]
	v_bfi_b32 v52, s24, v60, v59
	v_pk_add_f16 v13, v51, v13
	v_add_f16_e32 v172, v178, v172
	v_mul_f16_sdwa v178, v43, s23 dst_sel:DWORD dst_unused:UNUSED_PAD src0_sel:WORD_1 src1_sel:DWORD
	v_add_f16_e32 v164, v165, v164
	v_fma_f16 v165, v42, s7, v176
	v_add_f16_e32 v146, v147, v146
	v_fma_f16 v147, v42, s15, v158
	;; [unrolled: 2-line block ×6, first 2 shown]
	v_bfi_b32 v54, s24, v63, v61
	v_pk_add_f16 v13, v52, v13
	v_fma_f16 v179, v48, s8, -v178
	v_add_f16_e32 v164, v165, v164
	v_fma_f16 v165, v44, s22, v177
	v_add_f16_e32 v146, v147, v146
	v_fma_f16 v147, v44, s8, v159
	v_add_f16_e32 v128, v129, v128
	v_fma_f16 v129, v48, s7, v142
	v_add_f16_e32 v110, v111, v110
	v_fma_f16 v111, v48, s19, v124
	v_add_f16_e32 v92, v93, v92
	v_fma_f16 v93, v53, s21, v107
	v_add_f16_e32 v68, v69, v68
	v_fma_f16 v69, v53, s7, v90
	v_bfi_b32 v55, s24, v65, v64
	v_pk_add_f16 v12, v12, v14
	v_pk_add_f16 v13, v54, v13
	v_add_f16_e32 v172, v179, v172
	v_mul_f16_sdwa v179, v50, s14 dst_sel:DWORD dst_unused:UNUSED_PAD src0_sel:WORD_1 src1_sel:DWORD
	v_add_f16_e32 v164, v165, v164
	v_fma_f16 v165, v48, s8, v178
	v_add_f16_e32 v146, v147, v146
	v_fma_f16 v147, v48, s22, v160
	;; [unrolled: 2-line block ×4, first 2 shown]
	v_add_f16_e32 v92, v93, v92
	v_add_f16_e32 v68, v69, v68
	v_lshl_add_u32 v15, v3, 6, v0
	v_pk_add_f16 v12, v12, v39
	v_pk_add_f16 v13, v55, v13
	v_add_f16_e32 v164, v165, v164
	v_fma_f16 v165, v53, s16, v179
	v_add_f16_e32 v146, v147, v146
	v_fma_f16 v147, v53, s9, v161
	v_add_f16_e32 v128, v129, v128
	v_add_f16_e32 v110, v111, v110
	ds_write2_b32 v15, v12, v13 offset1:1
	v_pack_b32_f16 v12, v92, v91
	v_pack_b32_f16 v13, v68, v67
	v_add_f16_e32 v164, v165, v164
	v_add_f16_e32 v146, v147, v146
	ds_write2_b32 v15, v13, v12 offset0:2 offset1:3
	v_pack_b32_f16 v12, v128, v126
	v_pack_b32_f16 v13, v110, v108
	ds_write2_b32 v15, v13, v12 offset0:4 offset1:5
	v_pack_b32_f16 v12, v164, v162
	v_pack_b32_f16 v13, v146, v144
	ds_write2_b32 v15, v13, v12 offset0:6 offset1:7
	v_pk_mul_f16 v12, v34, s22 op_sel_hi:[1,0]
	v_pk_fma_f16 v13, v31, s20, v12 op_sel:[0,0,1] op_sel_hi:[1,0,0]
	v_alignbit_b32 v14, s0, v11, 16
	v_pk_mul_f16 v16, v35, s7 op_sel_hi:[1,0]
	v_pk_add_f16 v14, v14, v13
	v_pk_fma_f16 v17, v32, s1, v16 op_sel:[0,0,1] op_sel_hi:[1,0,0]
	v_pk_mul_f16 v18, v37, s21 op_sel_hi:[1,0]
	v_pk_fma_f16 v12, v31, s20, v12 op_sel:[0,0,1] op_sel_hi:[1,0,0] neg_lo:[1,0,0] neg_hi:[1,0,0]
	v_alignbit_b32 v13, s0, v13, 16
	v_pk_fma_f16 v19, v33, s18, v18 op_sel:[0,0,1] op_sel_hi:[1,0,0]
	v_pk_mul_f16 v20, v40, s8 op_sel_hi:[1,0]
	v_pk_add_f16 v12, v11, v12 op_sel:[1,0] op_sel_hi:[0,1]
	v_pk_fma_f16 v16, v32, s1, v16 op_sel:[0,0,1] op_sel_hi:[1,0,0] neg_lo:[1,0,0] neg_hi:[1,0,0]
	v_pk_add_f16 v11, v11, v13
	v_alignbit_b32 v13, s0, v17, 16
	v_pk_add_f16 v14, v17, v14
	v_pk_fma_f16 v21, v36, s23, v20 op_sel:[0,0,1] op_sel_hi:[1,0,0]
	v_pk_mul_f16 v22, v42, s19 op_sel_hi:[1,0]
	v_pk_add_f16 v12, v16, v12
	v_pk_fma_f16 v16, v33, s18, v18 op_sel:[0,0,1] op_sel_hi:[1,0,0] neg_lo:[1,0,0] neg_hi:[1,0,0]
	v_pk_add_f16 v11, v13, v11
	v_alignbit_b32 v13, s0, v19, 16
	v_pk_add_f16 v14, v19, v14
	v_pk_fma_f16 v23, v38, s17, v22 op_sel:[0,0,1] op_sel_hi:[1,0,0]
	v_pk_mul_f16 v24, v44, s9 op_sel_hi:[1,0]
	v_pk_add_f16 v12, v16, v12
	;; [unrolled: 7-line block ×4, first 2 shown]
	v_pk_fma_f16 v16, v41, s0, v24 op_sel:[0,0,1] op_sel_hi:[1,0,0] neg_lo:[1,0,0] neg_hi:[1,0,0]
	v_pk_add_f16 v11, v13, v11
	v_alignbit_b32 v13, s0, v25, 16
	v_pk_add_f16 v14, v25, v14
	v_pk_fma_f16 v37, v50, s25, v35 op_sel:[0,0,1] op_sel_hi:[1,0,0]
	v_pk_add_f16 v12, v16, v12
	v_pk_fma_f16 v16, v43, s14, v26 op_sel:[0,0,1] op_sel_hi:[1,0,0] neg_lo:[1,0,0] neg_hi:[1,0,0]
	v_pk_add_f16 v11, v13, v11
	v_alignbit_b32 v13, s0, v34, 16
	v_pk_add_f16 v14, v34, v14
	v_pk_add_f16 v12, v16, v12
	v_pk_fma_f16 v16, v50, s25, v35 op_sel:[0,0,1] op_sel_hi:[1,0,0] neg_lo:[1,0,0] neg_hi:[1,0,0]
	v_pk_add_f16 v11, v13, v11
	v_alignbit_b32 v13, s0, v37, 16
	v_fma_f16 v180, v53, s16, -v179
	v_pk_add_f16 v14, v37, v14
	v_pk_add_f16 v12, v16, v12
	;; [unrolled: 1-line block ×3, first 2 shown]
	v_add_f16_e32 v172, v180, v172
	v_alignbit_b32 v13, v14, v12, 16
	v_pack_b32_f16 v11, v11, v12
	ds_write2_b32 v15, v11, v13 offset0:8 offset1:9
	v_pack_b32_f16 v11, v154, v145
	v_pack_b32_f16 v12, v172, v163
	ds_write2_b32 v15, v12, v11 offset0:10 offset1:11
	v_pack_b32_f16 v11, v118, v109
	v_pack_b32_f16 v12, v136, v127
	ds_write2_b32 v15, v12, v11 offset0:12 offset1:13
	v_pack_b32_f16 v11, v62, v56
	v_pack_b32_f16 v12, v100, v66
	ds_write2_b32 v15, v12, v11 offset0:14 offset1:15
	v_perm_b32 v11, v27, v4, s6
	ds_write_b32 v15, v11 offset:64
.LBB0_21:
	s_or_b64 exec, exec, s[2:3]
	v_add_u32_e32 v26, 0x132, v3
	s_mov_b32 s0, 0xf0f1
	v_mul_u32_u24_sdwa v11, v26, s0 dst_sel:DWORD dst_unused:UNUSED_PAD src0_sel:WORD_0 src1_sel:DWORD
	v_lshrrev_b32_e32 v34, 20, v11
	v_mul_lo_u16_e32 v11, 17, v34
	v_add_u32_e32 v25, 0x165, v3
	v_sub_u16_e32 v11, v26, v11
	v_lshlrev_b32_e32 v42, 2, v11
	v_mul_u32_u24_sdwa v11, v25, s0 dst_sel:DWORD dst_unused:UNUSED_PAD src0_sel:WORD_0 src1_sel:DWORD
	v_lshrrev_b32_e32 v43, 20, v11
	v_mul_lo_u16_e32 v11, 17, v43
	v_sub_u16_e32 v11, v25, v11
	v_add_u32_e32 v32, 0xff, v3
	v_lshlrev_b32_e32 v44, 2, v11
	v_mul_u32_u24_sdwa v11, v32, s0 dst_sel:DWORD dst_unused:UNUSED_PAD src0_sel:WORD_0 src1_sel:DWORD
	v_lshrrev_b32_e32 v47, 20, v11
	s_movk_i32 s0, 0xf1
	v_add_u16_e32 v31, 0xcc, v3
	v_mul_lo_u16_e32 v11, 17, v47
	v_mul_lo_u16_sdwa v39, v31, s0 dst_sel:DWORD dst_unused:UNUSED_PAD src0_sel:BYTE_0 src1_sel:DWORD
	v_sub_u16_e32 v11, v32, v11
	v_lshrrev_b16_e32 v50, 12, v39
	v_add_u16_e32 v35, 0x99, v3
	v_lshlrev_b32_e32 v48, 2, v11
	v_mul_lo_u16_e32 v11, 17, v50
	v_mul_lo_u16_sdwa v37, v35, s0 dst_sel:DWORD dst_unused:UNUSED_PAD src0_sel:BYTE_0 src1_sel:DWORD
	s_waitcnt lgkmcnt(0)
	; wave barrier
	s_waitcnt lgkmcnt(0)
	global_load_dword v45, v42, s[12:13]
	global_load_dword v46, v44, s[12:13]
	v_sub_u16_e32 v11, v31, v11
	v_mov_b32_e32 v33, 2
	v_add_u16_e32 v36, 0x66, v3
	v_lshrrev_b16_e32 v53, 12, v37
	v_lshlrev_b32_sdwa v51, v33, v11 dst_sel:DWORD dst_unused:UNUSED_PAD src0_sel:DWORD src1_sel:BYTE_0
	v_mul_lo_u16_e32 v11, 17, v53
	v_mul_lo_u16_sdwa v40, v36, s0 dst_sel:DWORD dst_unused:UNUSED_PAD src0_sel:BYTE_0 src1_sel:DWORD
	v_add_u16_e32 v38, 51, v3
	v_sub_u16_e32 v11, v35, v11
	v_lshrrev_b16_e32 v56, 12, v40
	v_lshlrev_b32_sdwa v54, v33, v11 dst_sel:DWORD dst_unused:UNUSED_PAD src0_sel:DWORD src1_sel:BYTE_0
	v_mul_lo_u16_e32 v11, 17, v56
	v_mul_lo_u16_sdwa v41, v38, s0 dst_sel:DWORD dst_unused:UNUSED_PAD src0_sel:BYTE_0 src1_sel:DWORD
	v_sub_u16_e32 v11, v36, v11
	v_lshrrev_b16_e32 v59, 12, v41
	v_lshlrev_b32_sdwa v57, v33, v11 dst_sel:DWORD dst_unused:UNUSED_PAD src0_sel:DWORD src1_sel:BYTE_0
	v_mul_lo_u16_e32 v11, 17, v59
	v_sub_u16_e32 v11, v38, v11
	global_load_dword v49, v48, s[12:13]
	global_load_dword v52, v51, s[12:13]
	;; [unrolled: 1-line block ×4, first 2 shown]
	v_lshlrev_b32_sdwa v60, v33, v11 dst_sel:DWORD dst_unused:UNUSED_PAD src0_sel:DWORD src1_sel:BYTE_0
	global_load_dword v61, v60, s[12:13]
	v_mul_lo_u16_sdwa v11, v3, s0 dst_sel:DWORD dst_unused:UNUSED_PAD src0_sel:BYTE_0 src1_sel:DWORD
	v_lshrrev_b16_e32 v62, 12, v11
	v_mul_lo_u16_e32 v11, 17, v62
	v_sub_u16_e32 v11, v3, v11
	v_lshlrev_b32_sdwa v63, v33, v11 dst_sel:DWORD dst_unused:UNUSED_PAD src0_sel:DWORD src1_sel:BYTE_0
	global_load_dword v64, v63, s[12:13]
	ds_read2_b32 v[11:12], v0 offset1:51
	ds_read2_b32 v[13:14], v29 offset0:152 offset1:203
	ds_read2_b32 v[15:16], v0 offset0:102 offset1:153
	;; [unrolled: 1-line block ×6, first 2 shown]
	v_mul_u32_u24_e32 v30, 0x88, v62
	v_mul_u32_u24_e32 v34, 0x88, v34
	v_add3_u32 v62, 0, v30, v63
	s_mov_b32 s0, 0xffff
	v_mul_u32_u24_e32 v43, 0x88, v43
	v_add3_u32 v34, 0, v34, v42
	v_add3_u32 v44, 0, v43, v44
	v_mul_u32_u24_e32 v47, 0x88, v47
	v_add3_u32 v47, 0, v47, v48
	v_mul_u32_u24_e32 v59, 0x88, v59
	v_mul_u32_u24_e32 v56, 0x88, v56
	;; [unrolled: 1-line block ×4, first 2 shown]
	v_add3_u32 v59, 0, v59, v60
	v_add3_u32 v56, 0, v56, v57
	;; [unrolled: 1-line block ×4, first 2 shown]
	s_waitcnt vmcnt(7) lgkmcnt(0)
	v_pk_mul_f16 v48, v23, v45 op_sel:[0,1]
	s_waitcnt vmcnt(6)
	v_pk_mul_f16 v30, v24, v46 op_sel:[0,1]
	v_pk_fma_f16 v42, v24, v46, v30 op_sel:[0,0,1] op_sel_hi:[1,1,0]
	v_pk_fma_f16 v24, v24, v46, v30 op_sel:[0,0,1] op_sel_hi:[1,0,0] neg_lo:[0,0,1] neg_hi:[0,0,1]
	v_bfi_b32 v24, s0, v42, v24
	ds_read2_b32 v[42:43], v28 offset0:100 offset1:151
	v_pk_add_f16 v30, v22, v24 neg_lo:[0,1] neg_hi:[0,1]
	v_pk_fma_f16 v24, v23, v45, v48 op_sel:[0,0,1] op_sel_hi:[1,1,0]
	v_pk_fma_f16 v23, v23, v45, v48 op_sel:[0,0,1] op_sel_hi:[1,0,0] neg_lo:[0,0,1] neg_hi:[0,0,1]
	v_bfi_b32 v23, s0, v24, v23
	v_pk_add_f16 v23, v21, v23 neg_lo:[0,1] neg_hi:[0,1]
	v_pk_fma_f16 v22, v22, 2.0, v30 op_sel_hi:[1,0,1] neg_lo:[0,0,1] neg_hi:[0,0,1]
	v_pk_fma_f16 v21, v21, 2.0, v23 op_sel_hi:[1,0,1] neg_lo:[0,0,1] neg_hi:[0,0,1]
	s_waitcnt lgkmcnt(0)
	; wave barrier
	s_waitcnt vmcnt(5) lgkmcnt(0)
	v_pk_mul_f16 v24, v43, v49 op_sel:[0,1]
	v_pk_fma_f16 v45, v43, v49, v24 op_sel:[0,0,1] op_sel_hi:[1,1,0]
	v_pk_fma_f16 v24, v43, v49, v24 op_sel:[0,0,1] op_sel_hi:[1,0,0] neg_lo:[0,0,1] neg_hi:[0,0,1]
	s_waitcnt vmcnt(4)
	v_pk_mul_f16 v43, v42, v52 op_sel:[0,1]
	v_bfi_b32 v24, s0, v45, v24
	v_pk_fma_f16 v45, v42, v52, v43 op_sel:[0,0,1] op_sel_hi:[1,1,0]
	v_pk_fma_f16 v42, v42, v52, v43 op_sel:[0,0,1] op_sel_hi:[1,0,0] neg_lo:[0,0,1] neg_hi:[0,0,1]
	s_waitcnt vmcnt(3)
	v_pk_mul_f16 v43, v55, v18 op_sel:[0,1]
	v_bfi_b32 v42, s0, v45, v42
	;; [unrolled: 5-line block ×5, first 2 shown]
	v_pk_fma_f16 v45, v64, v13, v43 op_sel:[0,0,1] op_sel_hi:[1,1,0]
	v_pk_fma_f16 v13, v64, v13, v43 op_sel:[0,0,1] op_sel_hi:[1,0,0] neg_lo:[1,0,0] neg_hi:[1,0,0]
	v_bfi_b32 v13, s0, v45, v13
	v_pk_add_f16 v13, v11, v13 neg_lo:[0,1] neg_hi:[0,1]
	v_pk_add_f16 v24, v20, v24 neg_lo:[0,1] neg_hi:[0,1]
	;; [unrolled: 1-line block ×6, first 2 shown]
	v_pk_fma_f16 v11, v11, 2.0, v13 op_sel_hi:[1,0,1] neg_lo:[0,0,1] neg_hi:[0,0,1]
	v_pk_fma_f16 v20, v20, 2.0, v24 op_sel_hi:[1,0,1] neg_lo:[0,0,1] neg_hi:[0,0,1]
	;; [unrolled: 1-line block ×6, first 2 shown]
	ds_write2_b32 v62, v11, v13 offset1:17
	ds_write2_b32 v59, v12, v14 offset1:17
	;; [unrolled: 1-line block ×8, first 2 shown]
	v_add_u32_e32 v11, 0x200, v0
	s_waitcnt lgkmcnt(0)
	; wave barrier
	s_waitcnt lgkmcnt(0)
	ds_read2_b32 v[15:16], v0 offset1:51
	ds_read2_b32 v[11:12], v11 offset0:76 offset1:144
	ds_read2_b32 v[19:20], v28 offset0:32 offset1:83
	;; [unrolled: 1-line block ×6, first 2 shown]
	ds_read_b32 v42, v0 offset:2992
	v_cmp_gt_u32_e64 s[0:1], 17, v3
	v_lshrrev_b32_e32 v28, 16, v30
                                        ; implicit-def: $vgpr34
                                        ; implicit-def: $vgpr29
	s_and_saveexec_b64 s[2:3], s[0:1]
	s_cbranch_execz .LBB0_23
; %bb.22:
	ds_read_b32 v30, v0 offset:1020
	ds_read_b32 v4, v0 offset:2108
	;; [unrolled: 1-line block ×3, first 2 shown]
	s_waitcnt lgkmcnt(2)
	v_lshrrev_b32_e32 v28, 16, v30
	s_waitcnt lgkmcnt(1)
	v_lshrrev_b32_e32 v27, 16, v4
	;; [unrolled: 2-line block ×3, first 2 shown]
.LBB0_23:
	s_or_b64 exec, exec, s[2:3]
	v_subrev_u32_e32 v43, 34, v3
	v_cmp_gt_u32_e64 s[2:3], 34, v3
	v_cndmask_b32_e64 v47, v43, v3, s[2:3]
	v_lshlrev_b32_e32 v43, 1, v47
	v_mov_b32_e32 v44, 0
	v_lshlrev_b64 v[43:44], 2, v[43:44]
	v_lshrrev_b16_e32 v50, 13, v39
	v_mul_lo_u16_e32 v39, 34, v50
	v_mov_b32_e32 v48, s13
	v_mov_b32_e32 v49, 3
	v_sub_u16_e32 v51, v31, v39
	v_add_co_u32_e64 v43, s[2:3], s12, v43
	v_lshlrev_b32_sdwa v39, v49, v51 dst_sel:DWORD dst_unused:UNUSED_PAD src0_sel:DWORD src1_sel:BYTE_0
	v_addc_co_u32_e64 v44, s[2:3], v48, v44, s[2:3]
	v_lshrrev_b16_e32 v48, 13, v41
	global_load_dwordx2 v[45:46], v39, s[12:13] offset:68
	v_mul_lo_u16_e32 v39, 34, v48
	v_lshrrev_b16_e32 v53, 13, v40
	v_sub_u16_e32 v52, v38, v39
	global_load_dwordx2 v[38:39], v[43:44], off offset:68
	v_mul_lo_u16_e32 v43, 34, v53
	v_lshrrev_b16_e32 v55, 13, v37
	v_sub_u16_e32 v54, v36, v43
	v_mul_lo_u16_e32 v43, 34, v55
	v_sub_u16_e32 v35, v35, v43
	v_lshlrev_b32_sdwa v41, v49, v52 dst_sel:DWORD dst_unused:UNUSED_PAD src0_sel:DWORD src1_sel:BYTE_0
	v_lshlrev_b32_sdwa v43, v49, v35 dst_sel:DWORD dst_unused:UNUSED_PAD src0_sel:DWORD src1_sel:BYTE_0
	global_load_dwordx2 v[40:41], v41, s[12:13] offset:68
	v_lshlrev_b32_sdwa v36, v49, v54 dst_sel:DWORD dst_unused:UNUSED_PAD src0_sel:DWORD src1_sel:BYTE_0
	global_load_dwordx2 v[43:44], v43, s[12:13] offset:68
	s_waitcnt lgkmcnt(1)
	v_lshrrev_b32_e32 v61, 16, v24
	global_load_dwordx2 v[36:37], v36, s[12:13] offset:68
	s_waitcnt lgkmcnt(0)
	v_lshrrev_b32_e32 v62, 16, v42
	v_lshrrev_b32_e32 v63, 16, v12
	;; [unrolled: 1-line block ×7, first 2 shown]
	s_mov_b32 s6, 0xbaee
	s_movk_i32 s7, 0x3aee
	v_lshrrev_b32_e32 v67, 16, v22
	v_lshrrev_b32_e32 v68, 16, v17
	;; [unrolled: 1-line block ×7, first 2 shown]
	v_cmp_lt_u32_e64 s[2:3], 33, v3
	s_waitcnt lgkmcnt(0)
	; wave barrier
	s_waitcnt vmcnt(4)
	v_mul_f16_sdwa v70, v61, v45 dst_sel:DWORD dst_unused:UNUSED_PAD src0_sel:DWORD src1_sel:WORD_1
	v_mul_f16_sdwa v71, v24, v45 dst_sel:DWORD dst_unused:UNUSED_PAD src0_sel:DWORD src1_sel:WORD_1
	;; [unrolled: 1-line block ×4, first 2 shown]
	v_fma_f16 v24, v24, v45, v70
	v_fma_f16 v45, v61, v45, -v71
	s_waitcnt vmcnt(3)
	v_mul_f16_sdwa v61, v38, v63 dst_sel:DWORD dst_unused:UNUSED_PAD src0_sel:WORD_1 src1_sel:DWORD
	v_mul_f16_sdwa v70, v39, v64 dst_sel:DWORD dst_unused:UNUSED_PAD src0_sel:WORD_1 src1_sel:DWORD
	v_fma_f16 v42, v42, v46, v72
	v_fma_f16 v46, v62, v46, -v73
	v_mul_f16_sdwa v62, v38, v12 dst_sel:DWORD dst_unused:UNUSED_PAD src0_sel:WORD_1 src1_sel:DWORD
	v_mul_f16_sdwa v71, v39, v19 dst_sel:DWORD dst_unused:UNUSED_PAD src0_sel:WORD_1 src1_sel:DWORD
	v_fma_f16 v12, v38, v12, v61
	v_fma_f16 v19, v39, v19, v70
	s_waitcnt vmcnt(1)
	v_mul_f16_sdwa v82, v59, v44 dst_sel:DWORD dst_unused:UNUSED_PAD src0_sel:DWORD src1_sel:WORD_1
	v_mul_f16_sdwa v83, v18, v44 dst_sel:DWORD dst_unused:UNUSED_PAD src0_sel:DWORD src1_sel:WORD_1
	v_fma_f16 v38, v38, v63, -v62
	v_fma_f16 v39, v39, v64, -v71
	v_add_f16_e32 v61, v12, v19
	v_mul_f16_sdwa v72, v40, v65 dst_sel:DWORD dst_unused:UNUSED_PAD src0_sel:WORD_1 src1_sel:DWORD
	v_mul_f16_sdwa v74, v41, v66 dst_sel:DWORD dst_unused:UNUSED_PAD src0_sel:WORD_1 src1_sel:DWORD
	v_fma_f16 v18, v18, v44, v82
	v_fma_f16 v44, v59, v44, -v83
	v_add_f16_e32 v59, v15, v12
	v_fma_f16 v15, v61, -0.5, v15
	v_sub_f16_e32 v61, v38, v39
	v_mul_f16_sdwa v73, v40, v21 dst_sel:DWORD dst_unused:UNUSED_PAD src0_sel:WORD_1 src1_sel:DWORD
	v_mul_f16_sdwa v75, v41, v20 dst_sel:DWORD dst_unused:UNUSED_PAD src0_sel:WORD_1 src1_sel:DWORD
	v_fma_f16 v21, v40, v21, v72
	v_fma_f16 v20, v41, v20, v74
	;; [unrolled: 1-line block ×4, first 2 shown]
	v_add_f16_e32 v61, v49, v38
	v_add_f16_e32 v38, v38, v39
	v_fma_f16 v40, v40, v65, -v73
	v_fma_f16 v41, v41, v66, -v75
	v_add_f16_e32 v61, v61, v39
	v_fma_f16 v38, v38, -0.5, v49
	v_sub_f16_e32 v12, v12, v19
	v_add_f16_e32 v39, v21, v20
	s_waitcnt vmcnt(0)
	v_mul_f16_sdwa v76, v36, v67 dst_sel:DWORD dst_unused:UNUSED_PAD src0_sel:WORD_1 src1_sel:DWORD
	v_mul_f16_sdwa v78, v37, v68 dst_sel:DWORD dst_unused:UNUSED_PAD src0_sel:WORD_1 src1_sel:DWORD
	v_add_f16_e32 v59, v59, v19
	v_fma_f16 v19, v12, s7, v38
	v_fma_f16 v12, v12, s6, v38
	v_add_f16_e32 v38, v16, v21
	v_fma_f16 v16, v39, -0.5, v16
	v_sub_f16_e32 v39, v40, v41
	v_mul_f16_sdwa v77, v36, v22 dst_sel:DWORD dst_unused:UNUSED_PAD src0_sel:WORD_1 src1_sel:DWORD
	v_mul_f16_sdwa v79, v37, v17 dst_sel:DWORD dst_unused:UNUSED_PAD src0_sel:WORD_1 src1_sel:DWORD
	v_fma_f16 v22, v36, v22, v76
	v_fma_f16 v17, v37, v17, v78
	;; [unrolled: 1-line block ×4, first 2 shown]
	v_add_f16_e32 v39, v56, v40
	v_add_f16_e32 v40, v40, v41
	v_fma_f16 v36, v36, v67, -v77
	v_fma_f16 v37, v37, v68, -v79
	v_add_f16_e32 v38, v38, v20
	v_add_f16_e32 v39, v39, v41
	v_fma_f16 v40, v40, -0.5, v56
	v_sub_f16_e32 v20, v21, v20
	v_add_f16_e32 v41, v22, v17
	v_mul_f16_sdwa v80, v43, v69 dst_sel:DWORD dst_unused:UNUSED_PAD src0_sel:WORD_1 src1_sel:DWORD
	v_fma_f16 v21, v20, s7, v40
	v_fma_f16 v20, v20, s6, v40
	v_add_f16_e32 v40, v13, v22
	v_fma_f16 v13, v41, -0.5, v13
	v_sub_f16_e32 v41, v36, v37
	v_mul_f16_sdwa v81, v43, v23 dst_sel:DWORD dst_unused:UNUSED_PAD src0_sel:WORD_1 src1_sel:DWORD
	v_fma_f16 v23, v43, v23, v80
	v_fma_f16 v56, v41, s6, v13
	;; [unrolled: 1-line block ×3, first 2 shown]
	v_add_f16_e32 v41, v57, v36
	v_add_f16_e32 v36, v36, v37
	v_fma_f16 v43, v43, v69, -v81
	v_add_f16_e32 v40, v40, v17
	v_add_f16_e32 v41, v41, v37
	v_fma_f16 v36, v36, -0.5, v57
	v_sub_f16_e32 v17, v22, v17
	v_add_f16_e32 v37, v23, v18
	v_fma_f16 v22, v17, s7, v36
	v_fma_f16 v17, v17, s6, v36
	v_add_f16_e32 v36, v14, v23
	v_fma_f16 v14, v37, -0.5, v14
	v_sub_f16_e32 v37, v43, v44
	v_fma_f16 v57, v37, s6, v14
	v_fma_f16 v14, v37, s7, v14
	v_add_f16_e32 v37, v58, v43
	v_add_f16_e32 v43, v43, v44
	;; [unrolled: 1-line block ×4, first 2 shown]
	v_fma_f16 v43, v43, -0.5, v58
	v_sub_f16_e32 v18, v23, v18
	v_add_f16_e32 v44, v24, v42
	v_fma_f16 v23, v18, s7, v43
	v_fma_f16 v18, v18, s6, v43
	v_add_f16_e32 v43, v11, v24
	v_fma_f16 v11, v44, -0.5, v11
	v_sub_f16_e32 v44, v45, v46
	v_fma_f16 v58, v44, s6, v11
	v_fma_f16 v11, v44, s7, v11
	v_add_f16_e32 v44, v60, v45
	v_add_f16_e32 v45, v45, v46
	v_fma_f16 v45, v45, -0.5, v60
	v_sub_f16_e32 v24, v24, v42
	v_add_f16_e32 v43, v43, v42
	v_fma_f16 v42, v24, s7, v45
	v_fma_f16 v24, v24, s6, v45
	v_mov_b32_e32 v45, 0x198
	v_add_f16_e32 v44, v44, v46
	v_cndmask_b32_e64 v45, 0, v45, s[2:3]
	v_lshlrev_b32_e32 v46, 2, v47
	v_add3_u32 v45, 0, v45, v46
	v_pack_b32_f16 v12, v15, v12
	v_pack_b32_f16 v46, v59, v61
	;; [unrolled: 1-line block ×3, first 2 shown]
	ds_write_b32 v45, v12 offset:272
	v_mul_u32_u24_e32 v12, 0x198, v48
	v_lshlrev_b32_sdwa v15, v33, v52 dst_sel:DWORD dst_unused:UNUSED_PAD src0_sel:DWORD src1_sel:BYTE_0
	ds_write2_b32 v45, v46, v19 offset1:34
	v_add3_u32 v12, 0, v12, v15
	v_pack_b32_f16 v15, v38, v39
	v_pack_b32_f16 v19, v49, v21
	ds_write2_b32 v12, v15, v19 offset1:34
	v_pack_b32_f16 v15, v16, v20
	ds_write_b32 v12, v15 offset:272
	v_mul_u32_u24_e32 v12, 0x198, v53
	v_lshlrev_b32_sdwa v15, v33, v54 dst_sel:DWORD dst_unused:UNUSED_PAD src0_sel:DWORD src1_sel:BYTE_0
	v_add3_u32 v12, 0, v12, v15
	v_pack_b32_f16 v15, v40, v41
	v_pack_b32_f16 v16, v56, v22
	v_pack_b32_f16 v13, v13, v17
	ds_write2_b32 v12, v15, v16 offset1:34
	ds_write_b32 v12, v13 offset:272
	v_mul_u32_u24_e32 v12, 0x198, v55
	v_lshlrev_b32_sdwa v13, v33, v35 dst_sel:DWORD dst_unused:UNUSED_PAD src0_sel:DWORD src1_sel:BYTE_0
	v_add3_u32 v12, 0, v12, v13
	v_pack_b32_f16 v13, v36, v37
	v_pack_b32_f16 v15, v57, v23
	ds_write2_b32 v12, v13, v15 offset1:34
	v_pack_b32_f16 v13, v14, v18
	ds_write_b32 v12, v13 offset:272
	v_mul_u32_u24_e32 v12, 0x198, v50
	v_lshlrev_b32_sdwa v13, v33, v51 dst_sel:DWORD dst_unused:UNUSED_PAD src0_sel:DWORD src1_sel:BYTE_0
	v_add3_u32 v12, 0, v12, v13
	v_pack_b32_f16 v13, v43, v44
	v_pack_b32_f16 v14, v58, v42
	;; [unrolled: 1-line block ×3, first 2 shown]
	ds_write2_b32 v12, v13, v14 offset1:34
	ds_write_b32 v12, v11 offset:272
	s_and_saveexec_b64 s[2:3], s[0:1]
	s_cbranch_execz .LBB0_25
; %bb.24:
	s_mov_b32 s0, 0xf0f1
	v_mul_u32_u24_sdwa v11, v32, s0 dst_sel:DWORD dst_unused:UNUSED_PAD src0_sel:WORD_0 src1_sel:DWORD
	v_lshrrev_b32_e32 v11, 21, v11
	v_mul_lo_u16_e32 v11, 34, v11
	v_sub_u16_e32 v13, v32, v11
	v_lshlrev_b32_e32 v11, 3, v13
	global_load_dwordx2 v[11:12], v11, s[12:13] offset:68
	v_lshl_add_u32 v13, v13, 2, 0
	v_add_u32_e32 v14, 0x800, v13
	s_waitcnt vmcnt(0)
	v_mul_f16_sdwa v15, v29, v12 dst_sel:DWORD dst_unused:UNUSED_PAD src0_sel:DWORD src1_sel:WORD_1
	v_mul_f16_sdwa v16, v4, v11 dst_sel:DWORD dst_unused:UNUSED_PAD src0_sel:DWORD src1_sel:WORD_1
	;; [unrolled: 1-line block ×4, first 2 shown]
	v_fma_f16 v15, v34, v12, -v15
	v_fma_f16 v16, v27, v11, -v16
	v_fma_f16 v4, v4, v11, v17
	v_fma_f16 v11, v29, v12, v18
	v_add_f16_e32 v12, v28, v16
	v_add_f16_e32 v17, v30, v4
	;; [unrolled: 1-line block ×3, first 2 shown]
	v_sub_f16_e32 v19, v4, v11
	v_add_f16_e32 v4, v4, v11
	v_sub_f16_e32 v16, v16, v15
	v_add_f16_e32 v12, v12, v15
	v_fma_f16 v15, v18, -0.5, v28
	v_fma_f16 v4, v4, -0.5, v30
	v_add_f16_e32 v11, v17, v11
	v_fma_f16 v17, v19, s6, v15
	v_fma_f16 v15, v19, s7, v15
	;; [unrolled: 1-line block ×4, first 2 shown]
	v_pack_b32_f16 v11, v11, v12
	v_pack_b32_f16 v4, v4, v15
	;; [unrolled: 1-line block ×3, first 2 shown]
	ds_write2_b32 v14, v11, v4 offset0:202 offset1:236
	ds_write_b32 v13, v12 offset:3128
.LBB0_25:
	s_or_b64 exec, exec, s[2:3]
	v_mov_b32_e32 v4, s13
	v_add_co_u32_e64 v7, s[0:1], s12, v7
	v_addc_co_u32_e64 v8, s[0:1], v4, v8, s[0:1]
	v_add_co_u32_e64 v9, s[0:1], s12, v9
	v_addc_co_u32_e64 v10, s[0:1], v4, v10, s[0:1]
	s_mov_b32 s0, 0xa0a1
	v_mul_u32_u24_sdwa v11, v26, s0 dst_sel:DWORD dst_unused:UNUSED_PAD src0_sel:WORD_0 src1_sel:DWORD
	v_lshrrev_b32_e32 v11, 22, v11
	v_mul_lo_u16_e32 v11, 0x66, v11
	v_mul_u32_u24_sdwa v4, v32, s0 dst_sel:DWORD dst_unused:UNUSED_PAD src0_sel:WORD_0 src1_sel:DWORD
	v_sub_u16_e32 v11, v26, v11
	v_lshrrev_b32_e32 v4, 22, v4
	v_lshlrev_b32_e32 v28, 2, v11
	v_mul_u32_u24_sdwa v11, v25, s0 dst_sel:DWORD dst_unused:UNUSED_PAD src0_sel:WORD_0 src1_sel:DWORD
	v_mul_lo_u16_e32 v4, 0x66, v4
	v_lshrrev_b32_e32 v11, 22, v11
	s_movk_i32 s0, 0xa1
	s_waitcnt lgkmcnt(0)
	; wave barrier
	s_waitcnt lgkmcnt(0)
	v_sub_u16_e32 v4, v32, v4
	global_load_dword v27, v[7:8], off offset:340
	v_mul_lo_u16_e32 v11, 0x66, v11
	v_mul_lo_u16_sdwa v12, v31, s0 dst_sel:DWORD dst_unused:UNUSED_PAD src0_sel:BYTE_0 src1_sel:DWORD
	v_lshlrev_b32_e32 v4, 2, v4
	v_sub_u16_e32 v11, v25, v11
	v_lshrrev_b16_e32 v12, 14, v12
	v_lshlrev_b32_e32 v29, 2, v11
	global_load_dword v30, v4, s[12:13] offset:340
	global_load_dword v32, v28, s[12:13] offset:340
	;; [unrolled: 1-line block ×3, first 2 shown]
	global_load_dword v34, v[9:10], off offset:544
	v_mul_lo_u16_e32 v12, 0x66, v12
	v_mov_b32_e32 v11, 2
	v_sub_u16_e32 v12, v31, v12
	v_lshlrev_b32_sdwa v31, v11, v12 dst_sel:DWORD dst_unused:UNUSED_PAD src0_sel:DWORD src1_sel:BYTE_0
	global_load_dword v35, v31, s[12:13] offset:340
	v_add_u32_e32 v36, 0x400, v0
	ds_read2_b32 v[11:12], v0 offset1:51
	ds_read2_b32 v[13:14], v0 offset0:102 offset1:153
	v_add_u32_e32 v37, 0x600, v0
	ds_read2_b32 v[15:16], v0 offset0:204 offset1:255
	v_add_u32_e32 v38, 0x800, v0
	ds_read2_b32 v[17:18], v36 offset0:152 offset1:203
	ds_read2_b32 v[19:20], v37 offset0:126 offset1:177
	;; [unrolled: 1-line block ×5, first 2 shown]
	s_mov_b32 s0, 0xffff
	v_add_u32_e32 v31, 0, v31
	v_add_u32_e32 v4, 0, v4
	v_add_u32_e32 v28, 0, v28
	s_waitcnt lgkmcnt(0)
	; wave barrier
	s_waitcnt lgkmcnt(0)
	v_add_u32_e32 v4, 0x400, v4
	v_add_u32_e32 v29, 0, v29
	s_waitcnt vmcnt(5)
	v_pk_mul_f16 v39, v27, v17 op_sel:[0,1]
	v_pk_mul_f16 v40, v27, v19 op_sel:[0,1]
	v_pk_fma_f16 v41, v27, v17, v39 op_sel:[0,0,1] op_sel_hi:[1,1,0]
	v_pk_fma_f16 v17, v27, v17, v39 op_sel:[0,0,1] op_sel_hi:[1,0,0] neg_lo:[1,0,0] neg_hi:[1,0,0]
	v_pk_fma_f16 v39, v27, v19, v40 op_sel:[0,0,1] op_sel_hi:[1,1,0]
	v_pk_fma_f16 v19, v27, v19, v40 op_sel:[0,0,1] op_sel_hi:[1,0,0] neg_lo:[1,0,0] neg_hi:[1,0,0]
	v_bfi_b32 v19, s0, v39, v19
	s_waitcnt vmcnt(1)
	v_pk_mul_f16 v27, v34, v18 op_sel:[0,1]
	v_pk_mul_f16 v39, v34, v20 op_sel:[0,1]
	v_pk_fma_f16 v42, v34, v18, v27 op_sel:[0,0,1] op_sel_hi:[1,1,0]
	v_pk_fma_f16 v18, v34, v18, v27 op_sel:[0,0,1] op_sel_hi:[1,0,0] neg_lo:[1,0,0] neg_hi:[1,0,0]
	v_pk_fma_f16 v27, v34, v20, v39 op_sel:[0,0,1] op_sel_hi:[1,1,0]
	v_pk_fma_f16 v20, v34, v20, v39 op_sel:[0,0,1] op_sel_hi:[1,0,0] neg_lo:[1,0,0] neg_hi:[1,0,0]
	v_bfi_b32 v17, s0, v41, v17
	v_pk_mul_f16 v40, v24, v33 op_sel:[0,1]
	v_pk_mul_f16 v41, v23, v32 op_sel:[0,1]
	v_bfi_b32 v20, s0, v27, v20
	v_pk_mul_f16 v27, v26, v30 op_sel:[0,1]
	v_pk_fma_f16 v34, v24, v33, v40 op_sel:[0,0,1] op_sel_hi:[1,1,0]
	v_pk_fma_f16 v24, v24, v33, v40 op_sel:[0,0,1] op_sel_hi:[1,0,0] neg_lo:[0,0,1] neg_hi:[0,0,1]
	v_pk_fma_f16 v33, v23, v32, v41 op_sel:[0,0,1] op_sel_hi:[1,1,0]
	v_pk_fma_f16 v23, v23, v32, v41 op_sel:[0,0,1] op_sel_hi:[1,0,0] neg_lo:[0,0,1] neg_hi:[0,0,1]
	;; [unrolled: 2-line block ×3, first 2 shown]
	s_waitcnt vmcnt(0)
	v_pk_mul_f16 v27, v25, v35 op_sel:[0,1]
	v_bfi_b32 v18, s0, v42, v18
	v_pk_fma_f16 v30, v25, v35, v27 op_sel:[0,0,1] op_sel_hi:[1,1,0]
	v_pk_fma_f16 v25, v25, v35, v27 op_sel:[0,0,1] op_sel_hi:[1,0,0] neg_lo:[0,0,1] neg_hi:[0,0,1]
	v_pk_add_f16 v17, v11, v17 neg_lo:[0,1] neg_hi:[0,1]
	v_pk_add_f16 v18, v12, v18 neg_lo:[0,1] neg_hi:[0,1]
	v_bfi_b32 v26, s0, v32, v26
	v_bfi_b32 v25, s0, v30, v25
	v_pk_add_f16 v19, v13, v19 neg_lo:[0,1] neg_hi:[0,1]
	v_pk_fma_f16 v11, v11, 2.0, v17 op_sel_hi:[1,0,1] neg_lo:[0,0,1] neg_hi:[0,0,1]
	v_bfi_b32 v23, s0, v33, v23
	v_pk_add_f16 v20, v14, v20 neg_lo:[0,1] neg_hi:[0,1]
	v_pk_fma_f16 v12, v12, 2.0, v18 op_sel_hi:[1,0,1] neg_lo:[0,0,1] neg_hi:[0,0,1]
	v_pk_add_f16 v26, v16, v26 neg_lo:[0,1] neg_hi:[0,1]
	v_pk_add_f16 v25, v15, v25 neg_lo:[0,1] neg_hi:[0,1]
	v_pk_fma_f16 v13, v13, 2.0, v19 op_sel_hi:[1,0,1] neg_lo:[0,0,1] neg_hi:[0,0,1]
	v_bfi_b32 v24, s0, v34, v24
	v_pk_add_f16 v23, v21, v23 neg_lo:[0,1] neg_hi:[0,1]
	v_pk_fma_f16 v14, v14, 2.0, v20 op_sel_hi:[1,0,1] neg_lo:[0,0,1] neg_hi:[0,0,1]
	v_pk_fma_f16 v16, v16, 2.0, v26 op_sel_hi:[1,0,1] neg_lo:[0,0,1] neg_hi:[0,0,1]
	;; [unrolled: 1-line block ×3, first 2 shown]
	ds_write2_b32 v0, v11, v12 offset1:51
	ds_write2_b32 v0, v17, v18 offset0:102 offset1:153
	ds_write2_b32 v0, v13, v14 offset0:204 offset1:255
	;; [unrolled: 1-line block ×3, first 2 shown]
	v_add_u32_e32 v11, 0x400, v31
	v_pk_add_f16 v24, v22, v24 neg_lo:[0,1] neg_hi:[0,1]
	v_pk_fma_f16 v21, v21, 2.0, v23 op_sel_hi:[1,0,1] neg_lo:[0,0,1] neg_hi:[0,0,1]
	ds_write2_b32 v11, v15, v25 offset0:152 offset1:254
	ds_write2_b32 v4, v16, v26 offset0:152 offset1:254
	v_add_u32_e32 v4, 0x800, v28
	v_pk_fma_f16 v22, v22, 2.0, v24 op_sel_hi:[1,0,1] neg_lo:[0,0,1] neg_hi:[0,0,1]
	ds_write2_b32 v4, v21, v23 offset0:100 offset1:202
	v_add_u32_e32 v4, 0x800, v29
	ds_write2_b32 v4, v22, v24 offset0:100 offset1:202
	s_waitcnt lgkmcnt(0)
	; wave barrier
	s_waitcnt lgkmcnt(0)
	global_load_dword v4, v[7:8], off offset:748
	global_load_dword v27, v[9:10], off offset:952
	;; [unrolled: 1-line block ×4, first 2 shown]
	ds_read2_b32 v[11:12], v0 offset1:51
	ds_read2_b32 v[13:14], v36 offset0:152 offset1:203
	ds_read2_b32 v[15:16], v0 offset0:102 offset1:153
	;; [unrolled: 1-line block ×7, first 2 shown]
	s_waitcnt lgkmcnt(0)
	; wave barrier
	s_waitcnt vmcnt(3) lgkmcnt(0)
	v_pk_mul_f16 v30, v4, v13 op_sel:[0,1]
	s_waitcnt vmcnt(2)
	v_pk_mul_f16 v31, v27, v14 op_sel:[0,1]
	s_waitcnt vmcnt(1)
	;; [unrolled: 2-line block ×3, first 2 shown]
	v_pk_mul_f16 v33, v29, v18 op_sel:[0,1]
	v_pk_mul_f16 v34, v23, v4 op_sel:[0,1]
	;; [unrolled: 1-line block ×5, first 2 shown]
	v_pk_fma_f16 v41, v4, v13, v30 op_sel:[0,0,1] op_sel_hi:[1,1,0]
	v_pk_fma_f16 v13, v4, v13, v30 op_sel:[0,0,1] op_sel_hi:[1,0,0] neg_lo:[1,0,0] neg_hi:[1,0,0]
	v_pk_fma_f16 v30, v27, v14, v31 op_sel:[0,0,1] op_sel_hi:[1,1,0]
	v_pk_fma_f16 v14, v27, v14, v31 op_sel:[0,0,1] op_sel_hi:[1,0,0] neg_lo:[1,0,0] neg_hi:[1,0,0]
	;; [unrolled: 2-line block ×7, first 2 shown]
	v_pk_fma_f16 v28, v26, v29, v40 op_sel:[0,0,1] op_sel_hi:[1,1,0]
	v_bfi_b32 v13, s0, v41, v13
	v_bfi_b32 v14, s0, v30, v14
	;; [unrolled: 1-line block ×4, first 2 shown]
	v_pk_fma_f16 v25, v26, v29, v40 op_sel:[0,0,1] op_sel_hi:[1,0,0] neg_lo:[0,0,1] neg_hi:[0,0,1]
	v_bfi_b32 v17, s0, v31, v17
	v_bfi_b32 v18, s0, v32, v18
	v_bfi_b32 v4, s0, v33, v4
	v_pk_add_f16 v13, v11, v13 neg_lo:[0,1] neg_hi:[0,1]
	v_pk_add_f16 v14, v12, v14 neg_lo:[0,1] neg_hi:[0,1]
	v_bfi_b32 v25, s0, v28, v25
	v_pk_add_f16 v17, v15, v17 neg_lo:[0,1] neg_hi:[0,1]
	v_pk_add_f16 v18, v16, v18 neg_lo:[0,1] neg_hi:[0,1]
	;; [unrolled: 1-line block ×5, first 2 shown]
	v_pk_fma_f16 v11, v11, 2.0, v13 op_sel_hi:[1,0,1] neg_lo:[0,0,1] neg_hi:[0,0,1]
	v_pk_fma_f16 v12, v12, 2.0, v14 op_sel_hi:[1,0,1] neg_lo:[0,0,1] neg_hi:[0,0,1]
	v_pk_add_f16 v25, v22, v25 neg_lo:[0,1] neg_hi:[0,1]
	v_pk_fma_f16 v15, v15, 2.0, v17 op_sel_hi:[1,0,1] neg_lo:[0,0,1] neg_hi:[0,0,1]
	v_pk_fma_f16 v16, v16, 2.0, v18 op_sel_hi:[1,0,1] neg_lo:[0,0,1] neg_hi:[0,0,1]
	;; [unrolled: 1-line block ×6, first 2 shown]
	ds_write2_b32 v0, v11, v12 offset1:51
	ds_write2_b32 v0, v13, v14 offset0:204 offset1:255
	ds_write2_b32 v0, v15, v16 offset0:102 offset1:153
	;; [unrolled: 1-line block ×7, first 2 shown]
	s_waitcnt lgkmcnt(0)
	; wave barrier
	s_waitcnt lgkmcnt(0)
	global_load_dword v4, v[9:10], off offset:2584
	global_load_dword v23, v[9:10], off offset:2788
	;; [unrolled: 1-line block ×8, first 2 shown]
	ds_read2_b32 v[7:8], v0 offset1:51
	ds_read2_b32 v[9:10], v36 offset0:152 offset1:203
	ds_read2_b32 v[11:12], v0 offset0:102 offset1:153
	;; [unrolled: 1-line block ×7, first 2 shown]
	s_waitcnt lgkmcnt(0)
	; wave barrier
	s_waitcnt vmcnt(7) lgkmcnt(0)
	v_pk_mul_f16 v35, v20, v4 op_sel:[0,1]
	s_waitcnt vmcnt(6)
	v_pk_mul_f16 v39, v21, v23 op_sel:[0,1]
	s_waitcnt vmcnt(5)
	;; [unrolled: 2-line block ×7, first 2 shown]
	v_pk_mul_f16 v34, v19, v29 op_sel:[0,1]
	v_pk_fma_f16 v41, v25, v9, v30 op_sel:[0,0,1] op_sel_hi:[1,1,0]
	v_pk_fma_f16 v9, v25, v9, v30 op_sel:[0,0,1] op_sel_hi:[1,0,0] neg_lo:[1,0,0] neg_hi:[1,0,0]
	v_pk_fma_f16 v25, v26, v10, v31 op_sel:[0,0,1] op_sel_hi:[1,1,0]
	v_pk_fma_f16 v10, v26, v10, v31 op_sel:[0,0,1] op_sel_hi:[1,0,0] neg_lo:[1,0,0] neg_hi:[1,0,0]
	v_pk_fma_f16 v26, v27, v13, v32 op_sel:[0,0,1] op_sel_hi:[1,1,0]
	v_pk_fma_f16 v13, v27, v13, v32 op_sel:[0,0,1] op_sel_hi:[1,0,0] neg_lo:[1,0,0] neg_hi:[1,0,0]
	v_pk_fma_f16 v27, v28, v14, v33 op_sel:[0,0,1] op_sel_hi:[1,1,0]
	v_pk_fma_f16 v14, v28, v14, v33 op_sel:[0,0,1] op_sel_hi:[1,0,0] neg_lo:[1,0,0] neg_hi:[1,0,0]
	v_pk_fma_f16 v28, v19, v29, v34 op_sel:[0,0,1] op_sel_hi:[1,1,0]
	v_pk_fma_f16 v19, v19, v29, v34 op_sel:[0,0,1] op_sel_hi:[1,0,0] neg_lo:[0,0,1] neg_hi:[0,0,1]
	v_pk_fma_f16 v29, v20, v4, v35 op_sel:[0,0,1] op_sel_hi:[1,1,0]
	v_pk_fma_f16 v4, v20, v4, v35 op_sel:[0,0,1] op_sel_hi:[1,0,0] neg_lo:[0,0,1] neg_hi:[0,0,1]
	v_pk_fma_f16 v20, v21, v23, v39 op_sel:[0,0,1] op_sel_hi:[1,1,0]
	v_pk_fma_f16 v21, v21, v23, v39 op_sel:[0,0,1] op_sel_hi:[1,0,0] neg_lo:[0,0,1] neg_hi:[0,0,1]
	v_pk_fma_f16 v23, v22, v24, v40 op_sel:[0,0,1] op_sel_hi:[1,1,0]
	v_pk_fma_f16 v22, v22, v24, v40 op_sel:[0,0,1] op_sel_hi:[1,0,0] neg_lo:[0,0,1] neg_hi:[0,0,1]
	v_bfi_b32 v9, s0, v41, v9
	v_bfi_b32 v10, s0, v25, v10
	;; [unrolled: 1-line block ×8, first 2 shown]
	v_pk_add_f16 v9, v7, v9 neg_lo:[0,1] neg_hi:[0,1]
	v_pk_add_f16 v10, v8, v10 neg_lo:[0,1] neg_hi:[0,1]
	;; [unrolled: 1-line block ×8, first 2 shown]
	v_pk_fma_f16 v7, v7, 2.0, v9 op_sel_hi:[1,0,1] neg_lo:[0,0,1] neg_hi:[0,0,1]
	v_pk_fma_f16 v8, v8, 2.0, v10 op_sel_hi:[1,0,1] neg_lo:[0,0,1] neg_hi:[0,0,1]
	;; [unrolled: 1-line block ×8, first 2 shown]
	ds_write2_b32 v36, v9, v10 offset0:152 offset1:203
	ds_write2_b32 v37, v13, v14 offset0:126 offset1:177
	ds_write2_b32 v0, v7, v8 offset1:51
	ds_write2_b32 v0, v11, v12 offset0:102 offset1:153
	ds_write2_b32 v0, v15, v16 offset0:204 offset1:255
	;; [unrolled: 1-line block ×5, first 2 shown]
	s_waitcnt lgkmcnt(0)
	; wave barrier
	s_waitcnt lgkmcnt(0)
	s_and_saveexec_b64 s[0:1], vcc
	s_cbranch_execz .LBB0_27
; %bb.26:
	v_mul_lo_u32 v0, s5, v5
	v_mul_lo_u32 v4, s4, v6
	v_mad_u64_u32 v[5:6], s[0:1], s4, v5, 0
	v_lshl_add_u32 v9, v3, 2, 0
	ds_read2_b32 v[7:8], v9 offset1:51
	v_add3_u32 v6, v6, v4, v0
	v_lshlrev_b64 v[5:6], 2, v[5:6]
	v_mov_b32_e32 v0, s11
	v_add_co_u32_e32 v5, vcc, s10, v5
	v_addc_co_u32_e32 v6, vcc, v0, v6, vcc
	v_lshlrev_b64 v[0:1], 2, v[1:2]
	v_mov_b32_e32 v4, 0
	v_add_co_u32_e32 v2, vcc, v5, v0
	v_addc_co_u32_e32 v10, vcc, v6, v1, vcc
	v_lshlrev_b64 v[0:1], 2, v[3:4]
	ds_read2_b32 v[5:6], v9 offset0:102 offset1:153
	v_add_co_u32_e32 v0, vcc, v2, v0
	v_addc_co_u32_e32 v1, vcc, v10, v1, vcc
	s_waitcnt lgkmcnt(1)
	global_store_dword v[0:1], v7, off
	v_add_u32_e32 v0, 51, v3
	v_mov_b32_e32 v1, v4
	v_lshlrev_b64 v[0:1], 2, v[0:1]
	v_add_u32_e32 v7, 0x400, v9
	v_add_co_u32_e32 v0, vcc, v2, v0
	v_addc_co_u32_e32 v1, vcc, v10, v1, vcc
	global_store_dword v[0:1], v8, off
	v_add_u32_e32 v0, 0x66, v3
	v_mov_b32_e32 v1, v4
	v_lshlrev_b64 v[0:1], 2, v[0:1]
	v_add_co_u32_e32 v0, vcc, v2, v0
	v_addc_co_u32_e32 v1, vcc, v10, v1, vcc
	s_waitcnt lgkmcnt(0)
	global_store_dword v[0:1], v5, off
	v_add_u32_e32 v0, 0x99, v3
	v_mov_b32_e32 v1, v4
	v_lshlrev_b64 v[0:1], 2, v[0:1]
	v_add_co_u32_e32 v0, vcc, v2, v0
	v_addc_co_u32_e32 v1, vcc, v10, v1, vcc
	global_store_dword v[0:1], v6, off
	v_add_u32_e32 v0, 0xcc, v3
	v_mov_b32_e32 v1, v4
	ds_read2_b32 v[5:6], v9 offset0:204 offset1:255
	v_lshlrev_b64 v[0:1], 2, v[0:1]
	v_add_co_u32_e32 v0, vcc, v2, v0
	v_addc_co_u32_e32 v1, vcc, v10, v1, vcc
	s_waitcnt lgkmcnt(0)
	global_store_dword v[0:1], v5, off
	v_add_u32_e32 v0, 0xff, v3
	v_mov_b32_e32 v1, v4
	v_lshlrev_b64 v[0:1], 2, v[0:1]
	v_add_co_u32_e32 v0, vcc, v2, v0
	v_addc_co_u32_e32 v1, vcc, v10, v1, vcc
	global_store_dword v[0:1], v6, off
	v_add_u32_e32 v0, 0x132, v3
	v_mov_b32_e32 v1, v4
	ds_read2_b32 v[5:6], v7 offset0:50 offset1:101
	;; [unrolled: 14-line block ×3, first 2 shown]
	v_lshlrev_b64 v[0:1], 2, v[0:1]
	v_add_u32_e32 v7, 0x800, v9
	v_add_co_u32_e32 v0, vcc, v2, v0
	v_addc_co_u32_e32 v1, vcc, v10, v1, vcc
	s_waitcnt lgkmcnt(0)
	global_store_dword v[0:1], v5, off
	v_add_u32_e32 v0, 0x1cb, v3
	v_mov_b32_e32 v1, v4
	v_lshlrev_b64 v[0:1], 2, v[0:1]
	v_add_u32_e32 v5, 0x600, v9
	v_add_co_u32_e32 v0, vcc, v2, v0
	v_addc_co_u32_e32 v1, vcc, v10, v1, vcc
	global_store_dword v[0:1], v6, off
	v_add_u32_e32 v0, 0x1fe, v3
	v_mov_b32_e32 v1, v4
	ds_read2_b32 v[5:6], v5 offset0:126 offset1:177
	v_lshlrev_b64 v[0:1], 2, v[0:1]
	v_add_co_u32_e32 v0, vcc, v2, v0
	v_addc_co_u32_e32 v1, vcc, v10, v1, vcc
	s_waitcnt lgkmcnt(0)
	global_store_dword v[0:1], v5, off
	v_add_u32_e32 v0, 0x231, v3
	v_mov_b32_e32 v1, v4
	v_lshlrev_b64 v[0:1], 2, v[0:1]
	v_add_co_u32_e32 v0, vcc, v2, v0
	v_addc_co_u32_e32 v1, vcc, v10, v1, vcc
	global_store_dword v[0:1], v6, off
	v_add_u32_e32 v0, 0x264, v3
	v_mov_b32_e32 v1, v4
	ds_read2_b32 v[5:6], v7 offset0:100 offset1:151
	v_lshlrev_b64 v[0:1], 2, v[0:1]
	v_add_co_u32_e32 v0, vcc, v2, v0
	v_addc_co_u32_e32 v1, vcc, v10, v1, vcc
	s_waitcnt lgkmcnt(0)
	global_store_dword v[0:1], v5, off
	v_add_u32_e32 v0, 0x297, v3
	v_mov_b32_e32 v1, v4
	v_lshlrev_b64 v[0:1], 2, v[0:1]
	v_add_co_u32_e32 v0, vcc, v2, v0
	v_addc_co_u32_e32 v1, vcc, v10, v1, vcc
	global_store_dword v[0:1], v6, off
	v_add_u32_e32 v0, 0x2ca, v3
	v_mov_b32_e32 v1, v4
	ds_read2_b32 v[5:6], v7 offset0:202 offset1:253
	v_lshlrev_b64 v[0:1], 2, v[0:1]
	v_add_u32_e32 v3, 0x2fd, v3
	v_add_co_u32_e32 v0, vcc, v2, v0
	v_addc_co_u32_e32 v1, vcc, v10, v1, vcc
	s_waitcnt lgkmcnt(0)
	global_store_dword v[0:1], v5, off
	v_lshlrev_b64 v[0:1], 2, v[3:4]
	v_add_co_u32_e32 v0, vcc, v2, v0
	v_addc_co_u32_e32 v1, vcc, v10, v1, vcc
	global_store_dword v[0:1], v6, off
.LBB0_27:
	s_endpgm
	.section	.rodata,"a",@progbits
	.p2align	6, 0x0
	.amdhsa_kernel fft_rtc_back_len816_factors_17_2_3_2_2_2_wgs_51_tpt_51_halfLds_half_op_CI_CI_unitstride_sbrr_C2R_dirReg
		.amdhsa_group_segment_fixed_size 0
		.amdhsa_private_segment_fixed_size 0
		.amdhsa_kernarg_size 104
		.amdhsa_user_sgpr_count 6
		.amdhsa_user_sgpr_private_segment_buffer 1
		.amdhsa_user_sgpr_dispatch_ptr 0
		.amdhsa_user_sgpr_queue_ptr 0
		.amdhsa_user_sgpr_kernarg_segment_ptr 1
		.amdhsa_user_sgpr_dispatch_id 0
		.amdhsa_user_sgpr_flat_scratch_init 0
		.amdhsa_user_sgpr_private_segment_size 0
		.amdhsa_uses_dynamic_stack 0
		.amdhsa_system_sgpr_private_segment_wavefront_offset 0
		.amdhsa_system_sgpr_workgroup_id_x 1
		.amdhsa_system_sgpr_workgroup_id_y 0
		.amdhsa_system_sgpr_workgroup_id_z 0
		.amdhsa_system_sgpr_workgroup_info 0
		.amdhsa_system_vgpr_workitem_id 0
		.amdhsa_next_free_vgpr 181
		.amdhsa_next_free_sgpr 31
		.amdhsa_reserve_vcc 1
		.amdhsa_reserve_flat_scratch 0
		.amdhsa_float_round_mode_32 0
		.amdhsa_float_round_mode_16_64 0
		.amdhsa_float_denorm_mode_32 3
		.amdhsa_float_denorm_mode_16_64 3
		.amdhsa_dx10_clamp 1
		.amdhsa_ieee_mode 1
		.amdhsa_fp16_overflow 0
		.amdhsa_exception_fp_ieee_invalid_op 0
		.amdhsa_exception_fp_denorm_src 0
		.amdhsa_exception_fp_ieee_div_zero 0
		.amdhsa_exception_fp_ieee_overflow 0
		.amdhsa_exception_fp_ieee_underflow 0
		.amdhsa_exception_fp_ieee_inexact 0
		.amdhsa_exception_int_div_zero 0
	.end_amdhsa_kernel
	.text
.Lfunc_end0:
	.size	fft_rtc_back_len816_factors_17_2_3_2_2_2_wgs_51_tpt_51_halfLds_half_op_CI_CI_unitstride_sbrr_C2R_dirReg, .Lfunc_end0-fft_rtc_back_len816_factors_17_2_3_2_2_2_wgs_51_tpt_51_halfLds_half_op_CI_CI_unitstride_sbrr_C2R_dirReg
                                        ; -- End function
	.section	.AMDGPU.csdata,"",@progbits
; Kernel info:
; codeLenInByte = 13464
; NumSgprs: 35
; NumVgprs: 181
; ScratchSize: 0
; MemoryBound: 0
; FloatMode: 240
; IeeeMode: 1
; LDSByteSize: 0 bytes/workgroup (compile time only)
; SGPRBlocks: 4
; VGPRBlocks: 45
; NumSGPRsForWavesPerEU: 35
; NumVGPRsForWavesPerEU: 181
; Occupancy: 1
; WaveLimiterHint : 1
; COMPUTE_PGM_RSRC2:SCRATCH_EN: 0
; COMPUTE_PGM_RSRC2:USER_SGPR: 6
; COMPUTE_PGM_RSRC2:TRAP_HANDLER: 0
; COMPUTE_PGM_RSRC2:TGID_X_EN: 1
; COMPUTE_PGM_RSRC2:TGID_Y_EN: 0
; COMPUTE_PGM_RSRC2:TGID_Z_EN: 0
; COMPUTE_PGM_RSRC2:TIDIG_COMP_CNT: 0
	.type	__hip_cuid_b3f2d8bc381a3bc8,@object ; @__hip_cuid_b3f2d8bc381a3bc8
	.section	.bss,"aw",@nobits
	.globl	__hip_cuid_b3f2d8bc381a3bc8
__hip_cuid_b3f2d8bc381a3bc8:
	.byte	0                               ; 0x0
	.size	__hip_cuid_b3f2d8bc381a3bc8, 1

	.ident	"AMD clang version 19.0.0git (https://github.com/RadeonOpenCompute/llvm-project roc-6.4.0 25133 c7fe45cf4b819c5991fe208aaa96edf142730f1d)"
	.section	".note.GNU-stack","",@progbits
	.addrsig
	.addrsig_sym __hip_cuid_b3f2d8bc381a3bc8
	.amdgpu_metadata
---
amdhsa.kernels:
  - .args:
      - .actual_access:  read_only
        .address_space:  global
        .offset:         0
        .size:           8
        .value_kind:     global_buffer
      - .offset:         8
        .size:           8
        .value_kind:     by_value
      - .actual_access:  read_only
        .address_space:  global
        .offset:         16
        .size:           8
        .value_kind:     global_buffer
      - .actual_access:  read_only
        .address_space:  global
        .offset:         24
        .size:           8
        .value_kind:     global_buffer
      - .actual_access:  read_only
        .address_space:  global
        .offset:         32
        .size:           8
        .value_kind:     global_buffer
      - .offset:         40
        .size:           8
        .value_kind:     by_value
      - .actual_access:  read_only
        .address_space:  global
        .offset:         48
        .size:           8
        .value_kind:     global_buffer
      - .actual_access:  read_only
        .address_space:  global
        .offset:         56
        .size:           8
        .value_kind:     global_buffer
      - .offset:         64
        .size:           4
        .value_kind:     by_value
      - .actual_access:  read_only
        .address_space:  global
        .offset:         72
        .size:           8
        .value_kind:     global_buffer
      - .actual_access:  read_only
        .address_space:  global
        .offset:         80
        .size:           8
        .value_kind:     global_buffer
      - .actual_access:  read_only
        .address_space:  global
        .offset:         88
        .size:           8
        .value_kind:     global_buffer
      - .actual_access:  write_only
        .address_space:  global
        .offset:         96
        .size:           8
        .value_kind:     global_buffer
    .group_segment_fixed_size: 0
    .kernarg_segment_align: 8
    .kernarg_segment_size: 104
    .language:       OpenCL C
    .language_version:
      - 2
      - 0
    .max_flat_workgroup_size: 51
    .name:           fft_rtc_back_len816_factors_17_2_3_2_2_2_wgs_51_tpt_51_halfLds_half_op_CI_CI_unitstride_sbrr_C2R_dirReg
    .private_segment_fixed_size: 0
    .sgpr_count:     35
    .sgpr_spill_count: 0
    .symbol:         fft_rtc_back_len816_factors_17_2_3_2_2_2_wgs_51_tpt_51_halfLds_half_op_CI_CI_unitstride_sbrr_C2R_dirReg.kd
    .uniform_work_group_size: 1
    .uses_dynamic_stack: false
    .vgpr_count:     181
    .vgpr_spill_count: 0
    .wavefront_size: 64
amdhsa.target:   amdgcn-amd-amdhsa--gfx906
amdhsa.version:
  - 1
  - 2
...

	.end_amdgpu_metadata
